;; amdgpu-corpus repo=ROCm/rocFFT kind=compiled arch=gfx1030 opt=O3
	.text
	.amdgcn_target "amdgcn-amd-amdhsa--gfx1030"
	.amdhsa_code_object_version 6
	.protected	bluestein_single_back_len1650_dim1_sp_op_CI_CI ; -- Begin function bluestein_single_back_len1650_dim1_sp_op_CI_CI
	.globl	bluestein_single_back_len1650_dim1_sp_op_CI_CI
	.p2align	8
	.type	bluestein_single_back_len1650_dim1_sp_op_CI_CI,@function
bluestein_single_back_len1650_dim1_sp_op_CI_CI: ; @bluestein_single_back_len1650_dim1_sp_op_CI_CI
; %bb.0:
	s_load_dwordx4 s[12:15], s[4:5], 0x28
	v_mul_u32_u24_e32 v1, 0x254, v0
	v_mov_b32_e32 v123, 0
	s_mov_b32 s0, exec_lo
	v_lshrrev_b32_e32 v1, 16, v1
	v_add_nc_u32_e32 v122, s6, v1
	s_waitcnt lgkmcnt(0)
	v_cmpx_gt_u64_e64 s[12:13], v[122:123]
	s_cbranch_execz .LBB0_23
; %bb.1:
	s_clause 0x1
	s_load_dwordx4 s[8:11], s[4:5], 0x18
	s_load_dwordx2 s[6:7], s[4:5], 0x0
	v_mul_lo_u16 v1, 0x6e, v1
	v_sub_nc_u16 v33, v0, v1
	v_and_b32_e32 v166, 0xffff, v33
	v_lshlrev_b32_e32 v165, 3, v166
	s_waitcnt lgkmcnt(0)
	s_load_dwordx4 s[0:3], s[8:9], 0x0
	s_clause 0x1
	global_load_dwordx2 v[135:136], v165, s[6:7]
	global_load_dwordx2 v[133:134], v165, s[6:7] offset:1200
	v_add_co_u32 v118, s8, s6, v165
	v_add_co_ci_u32_e64 v119, null, s7, 0, s8
	v_add_nc_u32_e32 v12, 0x2400, v165
	v_add_co_u32 v116, vcc_lo, 0x800, v118
	v_add_co_ci_u32_e32 v117, vcc_lo, 0, v119, vcc_lo
	v_add_co_u32 v114, vcc_lo, 0x1000, v118
	v_add_co_ci_u32_e32 v115, vcc_lo, 0, v119, vcc_lo
	;; [unrolled: 2-line block ×3, first 2 shown]
	s_waitcnt lgkmcnt(0)
	v_mad_u64_u32 v[0:1], null, s2, v122, 0
	v_mad_u64_u32 v[2:3], null, s0, v166, 0
	v_add_co_u32 v110, vcc_lo, 0x2000, v118
	v_add_co_ci_u32_e32 v111, vcc_lo, 0, v119, vcc_lo
	v_add_co_u32 v108, vcc_lo, 0x2800, v118
	v_mad_u64_u32 v[4:5], null, s3, v122, v[1:2]
	v_add_co_ci_u32_e32 v109, vcc_lo, 0, v119, vcc_lo
	s_mul_i32 s3, s1, 0x96
	s_mul_hi_u32 s6, s0, 0x96
	s_mul_i32 s2, s0, 0x96
	s_add_i32 s3, s6, s3
	v_mad_u64_u32 v[5:6], null, s1, v166, v[3:4]
	v_mov_b32_e32 v1, v4
	s_lshl_b64 s[6:7], s[2:3], 3
	s_clause 0x6
	global_load_dwordx2 v[141:142], v[116:117], off offset:352
	global_load_dwordx2 v[139:140], v[116:117], off offset:1552
	;; [unrolled: 1-line block ×7, first 2 shown]
	v_lshlrev_b64 v[0:1], 3, v[0:1]
	v_mov_b32_e32 v3, v5
	v_add_co_u32 v0, vcc_lo, s14, v0
	v_lshlrev_b64 v[2:3], 3, v[2:3]
	v_add_co_ci_u32_e32 v1, vcc_lo, s15, v1, vcc_lo
	v_add_co_u32 v0, vcc_lo, v0, v2
	v_add_co_ci_u32_e32 v1, vcc_lo, v1, v3, vcc_lo
	v_add_co_u32 v2, vcc_lo, v0, s6
	v_add_co_ci_u32_e32 v3, vcc_lo, s7, v1, vcc_lo
	s_clause 0x1
	global_load_dwordx2 v[8:9], v[0:1], off
	global_load_dwordx2 v[10:11], v[2:3], off
	v_add_co_u32 v4, vcc_lo, v2, s6
	v_add_co_ci_u32_e32 v5, vcc_lo, s7, v3, vcc_lo
	v_add_co_u32 v6, vcc_lo, v4, s6
	v_add_co_ci_u32_e32 v7, vcc_lo, s7, v5, vcc_lo
	;; [unrolled: 2-line block ×3, first 2 shown]
	s_clause 0x1
	global_load_dwordx2 v[13:14], v[4:5], off
	global_load_dwordx2 v[5:6], v[6:7], off
	v_add_co_u32 v2, vcc_lo, v0, s6
	v_add_co_ci_u32_e32 v3, vcc_lo, s7, v1, vcc_lo
	global_load_dwordx2 v[15:16], v[0:1], off
	v_add_co_u32 v0, vcc_lo, v2, s6
	v_add_co_ci_u32_e32 v1, vcc_lo, s7, v3, vcc_lo
	;; [unrolled: 3-line block ×6, first 2 shown]
	global_load_dwordx2 v[127:128], v[108:109], off offset:560
	global_load_dwordx2 v[25:26], v[2:3], off
	global_load_dwordx2 v[129:130], v[108:109], off offset:1760
	global_load_dwordx2 v[27:28], v[0:1], off
	s_load_dwordx2 s[2:3], s[4:5], 0x38
	s_load_dwordx4 s[8:11], s[10:11], 0x0
	v_add_nc_u32_e32 v3, 0x800, v165
	v_add_nc_u32_e32 v2, 0x1000, v165
	;; [unrolled: 1-line block ×3, first 2 shown]
	v_cmp_gt_u16_e32 vcc_lo, 40, v33
	s_waitcnt vmcnt(12)
	v_mul_f32_e32 v7, v9, v136
	v_mul_f32_e32 v30, v8, v136
	s_waitcnt vmcnt(11)
	v_mul_f32_e32 v29, v11, v134
	v_fmac_f32_e32 v7, v8, v135
	v_fma_f32 v8, v9, v135, -v30
	v_mul_f32_e32 v30, v10, v134
	v_fmac_f32_e32 v29, v10, v133
	v_fma_f32 v30, v11, v133, -v30
	s_waitcnt vmcnt(10)
	v_mul_f32_e32 v9, v14, v142
	v_mul_f32_e32 v10, v13, v142
	s_waitcnt vmcnt(9)
	v_mul_f32_e32 v31, v6, v140
	v_mul_f32_e32 v32, v5, v140
	ds_write2_b64 v165, v[7:8], v[29:30] offset1:150
	v_fmac_f32_e32 v9, v13, v141
	v_fma_f32 v10, v14, v141, -v10
	v_fmac_f32_e32 v31, v5, v139
	v_fma_f32 v32, v6, v139, -v32
	s_waitcnt vmcnt(8)
	v_mul_f32_e32 v5, v16, v138
	v_mul_f32_e32 v6, v15, v138
	s_waitcnt vmcnt(7)
	v_mul_f32_e32 v7, v18, v132
	v_mul_f32_e32 v8, v17, v132
	ds_write2_b64 v3, v[9:10], v[31:32] offset0:44 offset1:194
	v_fmac_f32_e32 v5, v15, v137
	v_fma_f32 v6, v16, v137, -v6
	s_waitcnt vmcnt(6)
	v_mul_f32_e32 v9, v20, v126
	v_mul_f32_e32 v10, v19, v126
	v_fmac_f32_e32 v7, v17, v131
	v_fma_f32 v8, v18, v131, -v8
	s_waitcnt vmcnt(5)
	v_mul_f32_e32 v11, v21, v124
	v_mul_f32_e32 v13, v22, v124
	v_fmac_f32_e32 v9, v19, v125
	v_fma_f32 v10, v20, v125, -v10
	s_waitcnt vmcnt(4)
	v_mul_f32_e32 v15, v24, v121
	v_fma_f32 v14, v22, v123, -v11
	v_mul_f32_e32 v11, v23, v121
	s_waitcnt vmcnt(2)
	v_mul_f32_e32 v17, v26, v128
	v_mul_f32_e32 v18, v25, v128
	s_waitcnt vmcnt(0)
	v_mul_f32_e32 v19, v28, v130
	v_mul_f32_e32 v20, v27, v130
	v_fmac_f32_e32 v13, v21, v123
	v_fmac_f32_e32 v15, v23, v120
	v_fma_f32 v16, v24, v120, -v11
	v_fmac_f32_e32 v17, v25, v127
	v_fma_f32 v18, v26, v127, -v18
	;; [unrolled: 2-line block ×3, first 2 shown]
	ds_write2_b64 v2, v[5:6], v[7:8] offset0:88 offset1:238
	ds_write2_b64 v4, v[9:10], v[13:14] offset0:4 offset1:154
	;; [unrolled: 1-line block ×3, first 2 shown]
	ds_write_b64 v165, v[19:20] offset:12000
	s_and_saveexec_b32 s12, vcc_lo
	s_cbranch_execz .LBB0_3
; %bb.2:
	v_mad_u64_u32 v[0:1], null, 0xffffd490, s0, v[0:1]
	s_mulk_i32 s1, 0xd490
	global_load_dwordx2 v[7:8], v[118:119], off offset:880
	s_sub_i32 s0, s1, s0
	s_clause 0x2
	global_load_dwordx2 v[13:14], v[116:117], off offset:32
	global_load_dwordx2 v[15:16], v[116:117], off offset:1232
	;; [unrolled: 1-line block ×3, first 2 shown]
	v_add_nc_u32_e32 v11, 0x200, v165
	v_add_nc_u32_e32 v53, 0xc00, v165
	;; [unrolled: 1-line block ×3, first 2 shown]
	v_add_co_u32 v5, s0, v0, s6
	v_add_nc_u32_e32 v54, 0x1400, v165
	v_add_nc_u32_e32 v55, 0x1e00, v165
	v_add_co_ci_u32_e64 v6, s0, s7, v1, s0
	v_add_co_u32 v9, s0, v5, s6
	global_load_dwordx2 v[0:1], v[0:1], off
	v_add_co_ci_u32_e64 v10, s0, s7, v6, s0
	v_add_co_u32 v19, s0, v9, s6
	global_load_dwordx2 v[5:6], v[5:6], off
	;; [unrolled: 3-line block ×4, first 2 shown]
	v_add_co_ci_u32_e64 v24, s0, s7, v22, s0
	v_add_co_u32 v25, s0, v23, s6
	s_clause 0x3
	global_load_dwordx2 v[29:30], v[114:115], off offset:1584
	global_load_dwordx2 v[31:32], v[112:113], off offset:736
	;; [unrolled: 1-line block ×4, first 2 shown]
	v_add_co_ci_u32_e64 v26, s0, s7, v24, s0
	v_add_co_u32 v27, s0, v25, s6
	v_add_nc_u32_e32 v56, 0x2800, v165
	v_add_co_ci_u32_e64 v28, s0, s7, v26, s0
	v_add_co_u32 v37, s0, v27, s6
	v_add_co_ci_u32_e64 v38, s0, s7, v28, s0
	global_load_dwordx2 v[21:22], v[21:22], off
	global_load_dwordx2 v[23:24], v[23:24], off
	;; [unrolled: 1-line block ×5, first 2 shown]
	global_load_dwordx2 v[41:42], v[108:109], off offset:240
	v_add_co_u32 v37, s0, v37, s6
	v_add_co_ci_u32_e64 v38, s0, s7, v38, s0
	v_add_co_u32 v43, s0, 0x3000, v118
	v_add_co_ci_u32_e64 v44, s0, 0, v119, s0
	;; [unrolled: 2-line block ×3, first 2 shown]
	global_load_dwordx2 v[37:38], v[37:38], off
	s_clause 0x1
	global_load_dwordx2 v[47:48], v[108:109], off offset:1440
	global_load_dwordx2 v[43:44], v[43:44], off offset:592
	global_load_dwordx2 v[45:46], v[45:46], off
	s_waitcnt vmcnt(17)
	v_mul_f32_e32 v49, v1, v8
	v_mul_f32_e32 v8, v0, v8
	s_waitcnt vmcnt(16)
	v_mul_f32_e32 v51, v6, v14
	v_mul_f32_e32 v14, v5, v14
	v_fmac_f32_e32 v49, v0, v7
	v_fma_f32 v50, v1, v7, -v8
	v_fmac_f32_e32 v51, v5, v13
	v_fma_f32 v52, v6, v13, -v14
	s_waitcnt vmcnt(15)
	v_mul_f32_e32 v0, v10, v16
	v_mul_f32_e32 v1, v9, v16
	s_waitcnt vmcnt(14)
	v_mul_f32_e32 v5, v20, v18
	ds_write2_b64 v11, v[49:50], v[51:52] offset0:46 offset1:196
	v_mul_f32_e32 v6, v19, v18
	v_fmac_f32_e32 v0, v9, v15
	v_fma_f32 v1, v10, v15, -v1
	v_fmac_f32_e32 v5, v19, v17
	v_fma_f32 v6, v20, v17, -v6
	s_waitcnt vmcnt(9)
	v_mul_f32_e32 v7, v22, v30
	v_mul_f32_e32 v8, v21, v30
	s_waitcnt vmcnt(7)
	v_mul_f32_e32 v11, v25, v34
	v_mul_f32_e32 v9, v24, v32
	;; [unrolled: 1-line block ×4, first 2 shown]
	s_waitcnt vmcnt(6)
	v_mul_f32_e32 v15, v28, v36
	v_mul_f32_e32 v16, v27, v36
	s_waitcnt vmcnt(4)
	v_mul_f32_e32 v17, v40, v42
	v_fma_f32 v14, v26, v33, -v11
	v_mul_f32_e32 v11, v39, v42
	v_fmac_f32_e32 v7, v21, v29
	v_fma_f32 v8, v22, v29, -v8
	v_fmac_f32_e32 v9, v23, v31
	v_fma_f32 v10, v24, v31, -v10
	v_fmac_f32_e32 v13, v25, v33
	s_waitcnt vmcnt(2)
	v_mul_f32_e32 v19, v38, v48
	v_mul_f32_e32 v20, v37, v48
	s_waitcnt vmcnt(0)
	v_mul_f32_e32 v21, v46, v44
	v_mul_f32_e32 v22, v45, v44
	v_fmac_f32_e32 v15, v27, v35
	v_fma_f32 v16, v28, v35, -v16
	v_fmac_f32_e32 v17, v39, v41
	v_fma_f32 v18, v40, v41, -v11
	;; [unrolled: 2-line block ×4, first 2 shown]
	ds_write2_b64 v53, v[0:1], v[5:6] offset0:26 offset1:176
	ds_write2_b64 v54, v[7:8], v[9:10] offset0:70 offset1:220
	;; [unrolled: 1-line block ×4, first 2 shown]
	ds_write_b64 v165, v[21:22] offset:12880
.LBB0_3:
	s_or_b32 exec_lo, exec_lo, s12
	s_waitcnt lgkmcnt(0)
	s_barrier
	buffer_gl0_inv
	ds_read2_b64 v[36:39], v165 offset1:150
	ds_read2_b64 v[8:11], v3 offset0:44 offset1:194
	ds_read2_b64 v[0:3], v2 offset0:88 offset1:238
	;; [unrolled: 1-line block ×4, first 2 shown]
	ds_read_b64 v[42:43], v165 offset:12000
	v_mov_b32_e32 v20, 0
	v_mov_b32_e32 v21, 0
                                        ; implicit-def: $vgpr16
                                        ; implicit-def: $vgpr12
                                        ; implicit-def: $vgpr40
                                        ; implicit-def: $vgpr26
                                        ; implicit-def: $vgpr30
	s_and_saveexec_b32 s0, vcc_lo
	s_cbranch_execz .LBB0_5
; %bb.4:
	v_add_nc_u32_e32 v12, 0x200, v165
	v_add_nc_u32_e32 v13, 0xc00, v165
	;; [unrolled: 1-line block ×5, first 2 shown]
	ds_read2_b64 v[20:23], v12 offset0:46 offset1:196
	ds_read2_b64 v[28:31], v13 offset0:26 offset1:176
	;; [unrolled: 1-line block ×5, first 2 shown]
	ds_read_b64 v[40:41], v165 offset:12880
.LBB0_5:
	s_or_b32 exec_lo, exec_lo, s0
	s_waitcnt lgkmcnt(5)
	v_add_f32_e32 v44, v36, v38
	v_add_f32_e32 v45, v37, v39
	v_add_co_u32 v60, s0, 0x6e, v166
	v_add_co_ci_u32_e64 v46, null, 0, 0, s0
	s_waitcnt lgkmcnt(4)
	v_add_f32_e32 v44, v44, v8
	v_add_f32_e32 v45, v45, v9
	s_waitcnt lgkmcnt(0)
	v_add_f32_e32 v46, v42, v38
	v_sub_f32_e32 v48, v38, v42
	v_sub_f32_e32 v47, v39, v43
	v_add_f32_e32 v44, v44, v10
	v_add_f32_e32 v45, v45, v11
	v_sub_f32_e32 v65, v9, v35
	v_mul_f32_e32 v51, 0xbf68dda4, v48
	v_mul_f32_e32 v49, 0xbf0a6770, v48
	v_add_f32_e32 v38, v44, v0
	v_add_f32_e32 v44, v45, v1
	;; [unrolled: 1-line block ×3, first 2 shown]
	v_mul_f32_e32 v39, 0xbf0a6770, v47
	v_mul_f32_e32 v50, 0xbf68dda4, v47
	v_add_f32_e32 v38, v38, v2
	v_add_f32_e32 v44, v44, v3
	v_fmamk_f32 v56, v45, 0x3ed4b147, v51
	v_fma_f32 v53, 0x3f575c64, v46, -v39
	v_fmac_f32_e32 v39, 0x3f575c64, v46
	v_add_f32_e32 v38, v38, v4
	v_add_f32_e32 v44, v44, v5
	v_mul_f32_e32 v52, 0xbf7d64f0, v47
	v_mul_f32_e32 v61, 0xbf4178ce, v48
	v_add_f32_e32 v57, v36, v39
	v_add_f32_e32 v38, v38, v6
	;; [unrolled: 1-line block ×4, first 2 shown]
	v_sub_f32_e32 v8, v8, v34
	v_fmamk_f32 v54, v45, 0x3f575c64, v49
	v_add_f32_e32 v38, v38, v32
	v_add_f32_e32 v44, v44, v33
	v_fma_f32 v49, 0x3f575c64, v45, -v49
	v_fma_f32 v55, 0x3ed4b147, v46, -v50
	v_fmac_f32_e32 v50, 0x3ed4b147, v46
	v_add_f32_e32 v38, v38, v34
	v_add_f32_e32 v44, v44, v35
	v_fmamk_f32 v62, v45, 0xbf27a4f4, v61
	v_fma_f32 v61, 0xbf27a4f4, v45, -v61
	v_mul_f32_e32 v34, 0xbf68dda4, v65
	v_add_f32_e32 v38, v38, v42
	v_add_f32_e32 v39, v44, v43
	v_fma_f32 v42, 0x3ed4b147, v45, -v51
	v_add_f32_e32 v43, v37, v56
	v_mul_f32_e32 v51, 0xbf7d64f0, v48
	v_mul_f32_e32 v56, 0xbf4178ce, v47
	;; [unrolled: 1-line block ×4, first 2 shown]
	v_fma_f32 v44, 0xbe11bafb, v46, -v52
	v_fmamk_f32 v58, v45, 0xbe11bafb, v51
	v_fmac_f32_e32 v52, 0xbe11bafb, v46
	v_fma_f32 v51, 0xbe11bafb, v45, -v51
	v_fma_f32 v59, 0xbf27a4f4, v46, -v56
	v_fmac_f32_e32 v56, 0xbf27a4f4, v46
	v_fma_f32 v63, 0xbf75a155, v46, -v47
	v_fmamk_f32 v64, v45, 0xbf75a155, v48
	v_fmac_f32_e32 v47, 0xbf75a155, v46
	v_fma_f32 v45, 0xbf75a155, v45, -v48
	v_add_f32_e32 v9, v35, v9
	v_mul_f32_e32 v35, 0xbf68dda4, v8
	v_add_f32_e32 v53, v36, v53
	v_add_f32_e32 v54, v37, v54
	;; [unrolled: 1-line block ×16, first 2 shown]
	v_fma_f32 v46, 0x3ed4b147, v66, -v34
	v_add_f32_e32 v36, v36, v47
	v_add_f32_e32 v37, v37, v45
	v_mul_f32_e32 v45, 0xbf4178ce, v65
	v_fmamk_f32 v47, v9, 0x3ed4b147, v35
	v_fma_f32 v35, 0x3ed4b147, v9, -v35
	v_add_f32_e32 v46, v46, v53
	v_fmac_f32_e32 v34, 0x3ed4b147, v66
	v_fma_f32 v48, 0xbf27a4f4, v66, -v45
	v_mul_f32_e32 v53, 0xbf4178ce, v8
	v_add_f32_e32 v35, v35, v49
	v_mul_f32_e32 v49, 0x3e903f40, v65
	v_add_f32_e32 v47, v47, v54
	v_add_f32_e32 v34, v34, v57
	;; [unrolled: 1-line block ×3, first 2 shown]
	v_fmamk_f32 v54, v9, 0xbf27a4f4, v53
	v_fmac_f32_e32 v45, 0xbf27a4f4, v66
	v_fma_f32 v53, 0xbf27a4f4, v9, -v53
	v_mul_f32_e32 v55, 0x3e903f40, v8
	v_fma_f32 v57, 0xbf75a155, v66, -v49
	v_fmac_f32_e32 v49, 0xbf75a155, v66
	v_add_f32_e32 v43, v54, v43
	v_add_f32_e32 v45, v45, v50
	;; [unrolled: 1-line block ×3, first 2 shown]
	v_fmamk_f32 v50, v9, 0xbf75a155, v55
	v_mul_f32_e32 v53, 0x3f7d64f0, v65
	v_fma_f32 v54, 0xbf75a155, v9, -v55
	v_mul_f32_e32 v55, 0x3f7d64f0, v8
	v_add_f32_e32 v49, v49, v52
	v_mul_f32_e32 v52, 0x3f0a6770, v65
	v_add_f32_e32 v44, v57, v44
	v_add_f32_e32 v50, v50, v58
	v_fma_f32 v57, 0xbe11bafb, v66, -v53
	v_add_f32_e32 v51, v54, v51
	v_fmamk_f32 v54, v9, 0xbe11bafb, v55
	v_fmac_f32_e32 v53, 0xbe11bafb, v66
	v_fma_f32 v55, 0xbe11bafb, v9, -v55
	v_fma_f32 v58, 0x3f575c64, v66, -v52
	v_mul_f32_e32 v8, 0x3f0a6770, v8
	v_add_f32_e32 v57, v57, v59
	v_add_f32_e32 v53, v53, v56
	v_add_f32_e32 v55, v55, v61
	v_add_f32_e32 v56, v58, v63
	v_sub_f32_e32 v58, v11, v33
	v_sub_f32_e32 v61, v10, v32
	v_fmamk_f32 v59, v9, 0x3f575c64, v8
	v_fmac_f32_e32 v52, 0x3f575c64, v66
	v_add_f32_e32 v10, v32, v10
	v_mul_f32_e32 v32, 0xbf7d64f0, v58
	v_fma_f32 v8, 0x3f575c64, v9, -v8
	v_add_f32_e32 v9, v33, v11
	v_mul_f32_e32 v11, 0xbf7d64f0, v61
	v_add_f32_e32 v33, v59, v64
	v_fma_f32 v59, 0xbe11bafb, v10, -v32
	v_add_f32_e32 v36, v52, v36
	v_add_f32_e32 v8, v8, v37
	v_fmamk_f32 v37, v9, 0xbe11bafb, v11
	v_mul_f32_e32 v52, 0x3e903f40, v58
	v_add_f32_e32 v46, v59, v46
	v_fmac_f32_e32 v32, 0xbe11bafb, v10
	v_fma_f32 v11, 0xbe11bafb, v9, -v11
	v_add_f32_e32 v37, v37, v47
	v_fma_f32 v47, 0xbf75a155, v10, -v52
	v_mul_f32_e32 v59, 0x3e903f40, v61
	v_add_f32_e32 v54, v54, v62
	v_add_f32_e32 v32, v32, v34
	;; [unrolled: 1-line block ×3, first 2 shown]
	v_mul_f32_e32 v34, 0x3f68dda4, v58
	v_add_f32_e32 v35, v47, v48
	v_fmamk_f32 v47, v9, 0xbf75a155, v59
	v_fma_f32 v48, 0xbf75a155, v9, -v59
	v_mul_f32_e32 v62, 0x3f68dda4, v61
	v_fmac_f32_e32 v52, 0xbf75a155, v10
	v_fma_f32 v59, 0x3ed4b147, v10, -v34
	v_add_f32_e32 v43, v47, v43
	v_add_f32_e32 v42, v48, v42
	v_fmamk_f32 v47, v9, 0x3ed4b147, v62
	v_mul_f32_e32 v48, 0xbf0a6770, v58
	v_add_f32_e32 v45, v52, v45
	v_add_f32_e32 v44, v59, v44
	v_fmac_f32_e32 v34, 0x3ed4b147, v10
	v_fma_f32 v52, 0x3ed4b147, v9, -v62
	v_mul_f32_e32 v59, 0xbf0a6770, v61
	v_add_f32_e32 v47, v47, v50
	v_fma_f32 v50, 0x3f575c64, v10, -v48
	v_add_f32_e32 v34, v34, v49
	v_add_f32_e32 v49, v52, v51
	v_fmamk_f32 v51, v9, 0x3f575c64, v59
	v_mul_f32_e32 v52, 0xbf4178ce, v58
	v_add_f32_e32 v50, v50, v57
	v_fmac_f32_e32 v48, 0x3f575c64, v10
	v_fma_f32 v57, 0x3f575c64, v9, -v59
	v_add_f32_e32 v51, v51, v54
	v_fma_f32 v54, 0xbf27a4f4, v10, -v52
	v_mul_f32_e32 v58, 0xbf4178ce, v61
	v_add_f32_e32 v48, v48, v53
	v_add_f32_e32 v53, v57, v55
	v_sub_f32_e32 v55, v1, v7
	v_add_f32_e32 v57, v6, v0
	v_sub_f32_e32 v0, v0, v6
	v_add_f32_e32 v54, v54, v56
	v_fmamk_f32 v56, v9, 0xbf27a4f4, v58
	v_mul_f32_e32 v6, 0xbf4178ce, v55
	v_fma_f32 v9, 0xbf27a4f4, v9, -v58
	v_add_f32_e32 v1, v7, v1
	v_mul_f32_e32 v7, 0xbf4178ce, v0
	v_fmac_f32_e32 v52, 0xbf27a4f4, v10
	v_fma_f32 v10, 0xbf27a4f4, v57, -v6
	v_add_f32_e32 v8, v9, v8
	v_fmac_f32_e32 v6, 0xbf27a4f4, v57
	v_fmamk_f32 v9, v1, 0xbf27a4f4, v7
	v_fma_f32 v7, 0xbf27a4f4, v1, -v7
	v_add_f32_e32 v10, v10, v46
	v_mul_f32_e32 v46, 0x3f7d64f0, v55
	v_add_f32_e32 v36, v52, v36
	v_add_f32_e32 v9, v9, v37
	v_mul_f32_e32 v37, 0x3f7d64f0, v0
	v_add_f32_e32 v6, v6, v32
	v_fma_f32 v52, 0xbe11bafb, v57, -v46
	v_add_f32_e32 v7, v7, v11
	v_mul_f32_e32 v11, 0xbf0a6770, v55
	v_fmamk_f32 v32, v1, 0xbe11bafb, v37
	v_fmac_f32_e32 v46, 0xbe11bafb, v57
	v_add_f32_e32 v35, v52, v35
	v_fma_f32 v37, 0xbe11bafb, v1, -v37
	v_fma_f32 v52, 0x3f575c64, v57, -v11
	v_add_f32_e32 v32, v32, v43
	v_mul_f32_e32 v43, 0xbf0a6770, v0
	v_add_f32_e32 v45, v46, v45
	v_add_f32_e32 v37, v37, v42
	;; [unrolled: 1-line block ×3, first 2 shown]
	v_mul_f32_e32 v44, 0xbe903f40, v55
	v_fmamk_f32 v46, v1, 0x3f575c64, v43
	v_fmac_f32_e32 v11, 0x3f575c64, v57
	v_mul_f32_e32 v52, 0xbe903f40, v0
	v_fma_f32 v43, 0x3f575c64, v1, -v43
	v_add_f32_e32 v33, v56, v33
	v_fma_f32 v56, 0xbf75a155, v57, -v44
	v_add_f32_e32 v11, v11, v34
	v_fmamk_f32 v34, v1, 0xbf75a155, v52
	v_add_f32_e32 v43, v43, v49
	v_mul_f32_e32 v49, 0x3f68dda4, v55
	v_fmac_f32_e32 v44, 0xbf75a155, v57
	v_add_f32_e32 v46, v46, v47
	v_add_f32_e32 v47, v56, v50
	;; [unrolled: 1-line block ×3, first 2 shown]
	v_fma_f32 v50, 0xbf75a155, v1, -v52
	v_fma_f32 v51, 0x3ed4b147, v57, -v49
	v_add_f32_e32 v44, v44, v48
	v_sub_f32_e32 v48, v3, v5
	v_mul_f32_e32 v0, 0x3f68dda4, v0
	v_add_f32_e32 v50, v50, v53
	v_add_f32_e32 v51, v51, v54
	;; [unrolled: 1-line block ×3, first 2 shown]
	v_mul_f32_e32 v54, 0xbe903f40, v48
	v_sub_f32_e32 v2, v2, v4
	v_fmamk_f32 v52, v1, 0x3ed4b147, v0
	v_fma_f32 v0, 0x3ed4b147, v1, -v0
	v_add_f32_e32 v3, v5, v3
	v_fma_f32 v1, 0xbf75a155, v53, -v54
	v_mul_f32_e32 v4, 0xbe903f40, v2
	v_fmac_f32_e32 v54, 0xbf75a155, v53
	v_add_f32_e32 v0, v0, v8
	v_add_f32_e32 v33, v52, v33
	;; [unrolled: 1-line block ×3, first 2 shown]
	v_fmamk_f32 v8, v3, 0xbf75a155, v4
	v_fma_f32 v4, 0xbf75a155, v3, -v4
	v_mul_f32_e32 v10, 0x3f0a6770, v2
	v_add_f32_e32 v71, v54, v6
	v_mul_f32_e32 v6, 0xbf4178ce, v48
	v_add_f32_e32 v70, v8, v9
	v_add_f32_e32 v72, v4, v7
	v_fmamk_f32 v4, v3, 0x3f575c64, v10
	v_fma_f32 v7, 0x3f575c64, v3, -v10
	v_fma_f32 v8, 0xbf27a4f4, v53, -v6
	v_fmac_f32_e32 v6, 0xbf27a4f4, v53
	v_fmac_f32_e32 v49, 0x3ed4b147, v57
	v_add_f32_e32 v74, v4, v32
	v_mul_f32_e32 v4, 0xbf4178ce, v2
	v_add_f32_e32 v76, v7, v37
	v_add_f32_e32 v79, v6, v11
	v_mul_f32_e32 v1, 0x3f0a6770, v48
	v_add_f32_e32 v5, v49, v36
	v_fmamk_f32 v7, v3, 0xbf27a4f4, v4
	v_fma_f32 v4, 0xbf27a4f4, v3, -v4
	v_add_f32_e32 v77, v8, v42
	v_fma_f32 v36, 0x3f575c64, v53, -v1
	v_fmac_f32_e32 v1, 0x3f575c64, v53
	v_add_f32_e32 v78, v7, v46
	v_mul_f32_e32 v7, 0x3f68dda4, v2
	v_mul_f32_e32 v2, 0xbf7d64f0, v2
	v_add_f32_e32 v73, v36, v35
	v_add_f32_e32 v75, v1, v45
	v_mul_f32_e32 v1, 0x3f68dda4, v48
	v_fmamk_f32 v6, v3, 0x3ed4b147, v7
	v_fma_f32 v7, 0x3ed4b147, v3, -v7
	v_add_f32_e32 v45, v41, v23
	v_add_f32_e32 v80, v4, v43
	v_fma_f32 v8, 0x3ed4b147, v53, -v1
	v_add_f32_e32 v82, v6, v34
	v_fmamk_f32 v6, v3, 0xbe11bafb, v2
	v_mul_f32_e32 v4, 0xbf7d64f0, v48
	v_fmac_f32_e32 v1, 0x3ed4b147, v53
	v_add_f32_e32 v84, v7, v50
	v_add_f32_e32 v81, v8, v47
	;; [unrolled: 1-line block ×3, first 2 shown]
	v_sub_f32_e32 v6, v22, v40
	v_fma_f32 v8, 0xbe11bafb, v53, -v4
	v_add_f32_e32 v83, v1, v44
	v_sub_f32_e32 v1, v23, v41
	v_fmac_f32_e32 v4, 0xbe11bafb, v53
	v_mul_f32_e32 v35, 0xbf4178ce, v6
	v_mul_f32_e32 v33, 0xbf0a6770, v6
	;; [unrolled: 1-line block ×5, first 2 shown]
	v_fmamk_f32 v36, v45, 0xbf27a4f4, v35
	v_fma_f32 v2, 0xbe11bafb, v3, -v2
	v_sub_f32_e32 v53, v28, v14
	v_add_f32_e32 v85, v8, v51
	v_add_f32_e32 v44, v40, v22
	;; [unrolled: 1-line block ×3, first 2 shown]
	v_fmamk_f32 v36, v45, 0xbf75a155, v6
	v_mul_f32_e32 v32, 0xbf0a6770, v1
	v_add_f32_e32 v88, v2, v0
	v_fma_f32 v0, 0x3f575c64, v45, -v33
	v_fma_f32 v35, 0xbf27a4f4, v45, -v35
	v_sub_f32_e32 v48, v29, v15
	v_add_f32_e32 v52, v36, v21
	v_add_f32_e32 v51, v15, v29
	v_mul_f32_e32 v36, 0xbf68dda4, v53
	v_add_f32_e32 v87, v4, v5
	v_fmamk_f32 v3, v44, 0x3f575c64, v32
	v_mul_f32_e32 v34, 0xbf68dda4, v1
	v_fma_f32 v5, 0x3ed4b147, v45, -v37
	v_add_f32_e32 v0, v0, v21
	v_add_f32_e32 v47, v35, v21
	;; [unrolled: 1-line block ×3, first 2 shown]
	v_mul_f32_e32 v35, 0xbf68dda4, v48
	v_mul_f32_e32 v49, 0xbf4178ce, v53
	v_fma_f32 v55, 0x3ed4b147, v51, -v36
	v_add_f32_e32 v2, v3, v20
	v_mul_f32_e32 v3, 0xbf7d64f0, v1
	v_fmamk_f32 v4, v44, 0x3ed4b147, v34
	v_add_f32_e32 v5, v5, v21
	v_fmamk_f32 v10, v45, 0xbe11bafb, v7
	v_fmamk_f32 v54, v50, 0x3ed4b147, v35
	v_mul_f32_e32 v46, 0xbf4178ce, v48
	v_fma_f32 v57, 0xbf27a4f4, v51, -v49
	v_add_f32_e32 v0, v55, v0
	v_mul_f32_e32 v55, 0x3e903f40, v53
	v_fma_f32 v8, 0xbe11bafb, v44, -v3
	v_add_f32_e32 v4, v4, v20
	v_mul_f32_e32 v9, 0xbf4178ce, v1
	v_fmac_f32_e32 v3, 0xbe11bafb, v44
	v_fma_f32 v7, 0xbe11bafb, v45, -v7
	v_add_f32_e32 v10, v10, v21
	v_mul_f32_e32 v1, 0xbe903f40, v1
	v_add_f32_e32 v2, v54, v2
	v_mul_f32_e32 v54, 0x3e903f40, v48
	v_fmamk_f32 v56, v50, 0xbf27a4f4, v46
	v_add_f32_e32 v5, v57, v5
	v_fmamk_f32 v57, v51, 0xbf75a155, v55
	v_add_f32_e32 v8, v8, v20
	v_fma_f32 v11, 0xbf27a4f4, v44, -v9
	v_add_f32_e32 v3, v3, v20
	v_add_f32_e32 v7, v7, v21
	v_fmac_f32_e32 v9, 0xbf27a4f4, v44
	v_fma_f32 v42, 0xbf75a155, v44, -v1
	v_fmac_f32_e32 v1, 0xbf75a155, v44
	v_fma_f32 v58, 0xbf75a155, v50, -v54
	v_add_f32_e32 v4, v56, v4
	v_mul_f32_e32 v56, 0x3f7d64f0, v48
	v_fmac_f32_e32 v54, 0xbf75a155, v50
	v_fma_f32 v55, 0xbf75a155, v51, -v55
	v_add_f32_e32 v10, v57, v10
	v_mul_f32_e32 v57, 0x3f7d64f0, v53
	v_mul_f32_e32 v48, 0x3f0a6770, v48
	v_add_f32_e32 v11, v11, v20
	v_add_f32_e32 v9, v9, v20
	;; [unrolled: 1-line block ×4, first 2 shown]
	v_fma_f32 v58, 0xbe11bafb, v50, -v56
	v_add_f32_e32 v3, v54, v3
	v_add_f32_e32 v7, v55, v7
	v_fmamk_f32 v54, v51, 0xbe11bafb, v57
	v_mul_f32_e32 v53, 0x3f0a6770, v53
	v_fmac_f32_e32 v56, 0xbe11bafb, v50
	v_fma_f32 v55, 0xbe11bafb, v51, -v57
	v_fma_f32 v57, 0x3f575c64, v50, -v48
	v_fmac_f32_e32 v48, 0x3f575c64, v50
	v_sub_f32_e32 v61, v30, v12
	v_add_f32_e32 v42, v42, v20
	v_add_f32_e32 v11, v58, v11
	;; [unrolled: 1-line block ×3, first 2 shown]
	v_fmamk_f32 v54, v51, 0x3f575c64, v53
	v_add_f32_e32 v9, v56, v9
	v_sub_f32_e32 v58, v31, v13
	v_add_f32_e32 v1, v48, v1
	v_add_f32_e32 v56, v13, v31
	v_mul_f32_e32 v48, 0xbf7d64f0, v61
	v_fma_f32 v6, 0xbf75a155, v45, -v6
	v_add_f32_e32 v55, v55, v47
	v_add_f32_e32 v42, v57, v42
	v_add_f32_e32 v59, v54, v52
	v_add_f32_e32 v57, v12, v30
	v_mul_f32_e32 v47, 0xbf7d64f0, v58
	v_mul_f32_e32 v54, 0x3e903f40, v61
	v_fma_f32 v62, 0xbe11bafb, v56, -v48
	v_add_f32_e32 v6, v6, v21
	v_fma_f32 v52, 0x3f575c64, v51, -v53
	v_fmamk_f32 v53, v57, 0xbe11bafb, v47
	v_fma_f32 v64, 0xbf75a155, v56, -v54
	v_add_f32_e32 v0, v62, v0
	v_mul_f32_e32 v62, 0x3f68dda4, v61
	v_add_f32_e32 v6, v52, v6
	v_mul_f32_e32 v52, 0x3e903f40, v58
	;; [unrolled: 2-line block ×3, first 2 shown]
	v_add_f32_e32 v5, v64, v5
	v_fmamk_f32 v64, v56, 0x3ed4b147, v62
	v_fmamk_f32 v63, v57, 0xbf75a155, v52
	v_fma_f32 v62, 0x3ed4b147, v56, -v62
	v_fma_f32 v65, 0x3ed4b147, v57, -v53
	v_fmac_f32_e32 v53, 0x3ed4b147, v57
	v_add_f32_e32 v10, v64, v10
	v_mul_f32_e32 v64, 0xbf0a6770, v61
	v_add_f32_e32 v4, v63, v4
	v_mul_f32_e32 v63, 0xbf0a6770, v58
	;; [unrolled: 2-line block ×3, first 2 shown]
	v_fmamk_f32 v53, v56, 0x3f575c64, v64
	v_mul_f32_e32 v61, 0xbf4178ce, v61
	v_add_f32_e32 v8, v65, v8
	v_fma_f32 v65, 0x3f575c64, v57, -v63
	v_add_f32_e32 v7, v62, v7
	v_fma_f32 v62, 0x3f575c64, v56, -v64
	v_fma_f32 v64, 0xbf27a4f4, v57, -v58
	v_add_f32_e32 v43, v53, v43
	v_fmamk_f32 v53, v56, 0xbf27a4f4, v61
	v_sub_f32_e32 v66, v25, v19
	v_sub_f32_e32 v67, v24, v18
	v_add_f32_e32 v11, v65, v11
	v_fmac_f32_e32 v63, 0x3f575c64, v57
	v_add_f32_e32 v62, v62, v55
	v_add_f32_e32 v42, v64, v42
	v_fmac_f32_e32 v58, 0xbf27a4f4, v57
	v_add_f32_e32 v59, v53, v59
	v_add_f32_e32 v64, v18, v24
	v_mul_f32_e32 v53, 0xbf4178ce, v66
	v_fma_f32 v61, 0xbf27a4f4, v56, -v61
	v_add_f32_e32 v65, v19, v25
	v_mul_f32_e32 v55, 0xbf4178ce, v67
	v_add_f32_e32 v9, v63, v9
	v_add_f32_e32 v1, v58, v1
	v_fmamk_f32 v68, v64, 0xbf27a4f4, v53
	v_mul_f32_e32 v58, 0x3f7d64f0, v66
	v_add_f32_e32 v6, v61, v6
	v_mul_f32_e32 v63, 0x3f7d64f0, v67
	v_fma_f32 v61, 0xbf27a4f4, v65, -v55
	v_add_f32_e32 v2, v68, v2
	v_fmamk_f32 v68, v64, 0xbe11bafb, v58
	v_mul_f32_e32 v89, 0xbf0a6770, v66
	v_fma_f32 v90, 0xbe11bafb, v65, -v63
	v_add_f32_e32 v0, v61, v0
	v_mul_f32_e32 v61, 0xbf0a6770, v67
	v_add_f32_e32 v4, v68, v4
	v_fma_f32 v68, 0x3f575c64, v64, -v89
	v_add_f32_e32 v5, v90, v5
	v_mul_f32_e32 v90, 0xbe903f40, v66
	v_fmamk_f32 v91, v65, 0x3f575c64, v61
	v_fmac_f32_e32 v89, 0x3f575c64, v64
	v_fma_f32 v61, 0x3f575c64, v65, -v61
	v_add_f32_e32 v8, v68, v8
	v_fma_f32 v68, 0xbf75a155, v64, -v90
	v_fmac_f32_e32 v90, 0xbf75a155, v64
	v_add_f32_e32 v89, v89, v3
	v_mul_f32_e32 v3, 0xbe903f40, v67
	v_add_f32_e32 v7, v61, v7
	v_mul_f32_e32 v61, 0x3f68dda4, v66
	v_mul_f32_e32 v66, 0x3f68dda4, v67
	v_add_f32_e32 v10, v91, v10
	v_fmamk_f32 v67, v65, 0xbf75a155, v3
	v_add_f32_e32 v90, v90, v9
	v_sub_f32_e32 v9, v27, v17
	v_fmamk_f32 v91, v65, 0x3ed4b147, v66
	v_add_f32_e32 v11, v68, v11
	v_fma_f32 v3, 0xbf75a155, v65, -v3
	v_fma_f32 v68, 0x3ed4b147, v64, -v61
	v_add_f32_e32 v92, v67, v43
	v_add_f32_e32 v91, v91, v59
	v_fmac_f32_e32 v61, 0x3ed4b147, v64
	v_sub_f32_e32 v95, v26, v16
	v_add_f32_e32 v67, v16, v26
	v_mul_f32_e32 v59, 0xbe903f40, v9
	v_add_f32_e32 v93, v3, v62
	v_add_f32_e32 v94, v68, v42
	v_fma_f32 v3, 0x3ed4b147, v65, -v66
	v_add_f32_e32 v96, v61, v1
	v_add_f32_e32 v68, v17, v27
	v_mul_f32_e32 v61, 0xbe903f40, v95
	v_fmamk_f32 v1, v67, 0xbf75a155, v59
	v_mul_f32_e32 v62, 0x3f0a6770, v9
	v_add_f32_e32 v97, v3, v6
	v_mul_f32_e32 v66, 0x3f0a6770, v95
	v_fma_f32 v3, 0xbf75a155, v68, -v61
	v_mul_f32_e32 v6, 0xbf4178ce, v9
	v_add_f32_e32 v143, v1, v2
	v_fmamk_f32 v1, v67, 0x3f575c64, v62
	v_fma_f32 v42, 0x3f575c64, v68, -v66
	v_add_f32_e32 v144, v3, v0
	v_fma_f32 v0, 0xbf27a4f4, v67, -v6
	v_mul_f32_e32 v43, 0xbf4178ce, v95
	v_add_f32_e32 v2, v1, v4
	v_mul_f32_e32 v4, 0x3f68dda4, v9
	s_load_dwordx2 s[4:5], s[4:5], 0x8
	v_add_f32_e32 v3, v42, v5
	v_add_f32_e32 v42, v0, v8
	v_fmamk_f32 v0, v68, 0xbf27a4f4, v43
	v_fmac_f32_e32 v6, 0xbf27a4f4, v67
	v_fma_f32 v1, 0xbf27a4f4, v68, -v43
	v_fma_f32 v5, 0x3ed4b147, v67, -v4
	v_mul_f32_e32 v98, 0x3f68dda4, v95
	v_add_f32_e32 v43, v0, v10
	v_add_f32_e32 v0, v6, v89
	;; [unrolled: 1-line block ×4, first 2 shown]
	v_fmamk_f32 v5, v68, 0x3ed4b147, v98
	v_fmac_f32_e32 v4, 0x3ed4b147, v67
	v_fma_f32 v7, 0x3ed4b147, v68, -v98
	v_mul_f32_e32 v89, 0xbf7d64f0, v9
	v_mul_f32_e32 v10, 0xbf7d64f0, v95
	v_add_f32_e32 v9, v5, v92
	v_add_f32_e32 v6, v4, v90
	;; [unrolled: 1-line block ×3, first 2 shown]
	v_fma_f32 v4, 0xbe11bafb, v67, -v89
	v_fmamk_f32 v5, v68, 0xbe11bafb, v10
	v_fmac_f32_e32 v89, 0xbe11bafb, v67
	v_mul_lo_u16 v90, v166, 11
	v_mov_b32_e32 v92, 3
	v_fma_f32 v93, 0xbe11bafb, v68, -v10
	v_add_f32_e32 v10, v4, v94
	v_add_f32_e32 v11, v5, v91
	;; [unrolled: 1-line block ×3, first 2 shown]
	v_lshlrev_b32_sdwa v176, v92, v90 dst_sel:DWORD dst_unused:UNUSED_PAD src0_sel:DWORD src1_sel:WORD_0
	v_add_f32_e32 v5, v93, v97
	v_mul_u32_u24_e32 v167, 11, v60
	s_waitcnt lgkmcnt(0)
	s_barrier
	buffer_gl0_inv
	ds_write2_b64 v176, v[38:39], v[69:70] offset1:1
	ds_write2_b64 v176, v[73:74], v[77:78] offset0:2 offset1:3
	ds_write2_b64 v176, v[81:82], v[85:86] offset0:4 offset1:5
	;; [unrolled: 1-line block ×4, first 2 shown]
	ds_write_b64 v176, v[71:72] offset:80
	s_and_saveexec_b32 s0, vcc_lo
	s_cbranch_execz .LBB0_7
; %bb.6:
	v_add_f32_e32 v23, v23, v21
	v_add_f32_e32 v22, v22, v20
	v_mul_f32_e32 v38, 0x3f575c64, v44
	v_mul_f32_e32 v39, 0x3f575c64, v45
	;; [unrolled: 1-line block ×3, first 2 shown]
	v_add_f32_e32 v23, v29, v23
	v_add_f32_e32 v28, v28, v22
	v_mul_f32_e32 v45, 0x3ed4b147, v45
	v_mul_f32_e32 v69, 0x3ed4b147, v50
	;; [unrolled: 1-line block ×3, first 2 shown]
	v_add_f32_e32 v23, v31, v23
	v_add_f32_e32 v28, v30, v28
	;; [unrolled: 1-line block ×3, first 2 shown]
	v_sub_f32_e32 v34, v44, v34
	v_add_f32_e32 v33, v33, v39
	v_add_f32_e32 v23, v25, v23
	v_add_f32_e32 v24, v24, v28
	v_sub_f32_e32 v30, v38, v32
	v_mul_f32_e32 v50, 0xbf27a4f4, v50
	v_mul_f32_e32 v51, 0xbf27a4f4, v51
	v_add_f32_e32 v23, v27, v23
	v_add_f32_e32 v24, v26, v24
	v_mul_f32_e32 v71, 0xbe11bafb, v57
	v_mul_f32_e32 v72, 0xbe11bafb, v56
	v_add_f32_e32 v37, v37, v21
	v_add_f32_e32 v34, v34, v20
	;; [unrolled: 1-line block ×5, first 2 shown]
	v_sub_f32_e32 v28, v69, v35
	v_add_f32_e32 v17, v17, v23
	v_add_f32_e32 v16, v16, v24
	v_mul_f32_e32 v57, 0xbf75a155, v57
	v_mul_f32_e32 v45, 0xbf75a155, v56
	v_add_f32_e32 v49, v49, v51
	v_sub_f32_e32 v46, v50, v46
	v_mul_f32_e32 v56, 0xbf27a4f4, v64
	v_mul_f32_e32 v73, 0xbf27a4f4, v65
	v_add_f32_e32 v21, v25, v21
	v_add_f32_e32 v25, v48, v72
	v_add_f32_e32 v20, v28, v20
	v_sub_f32_e32 v23, v71, v47
	v_add_f32_e32 v17, v19, v17
	v_add_f32_e32 v16, v18, v16
	v_mul_f32_e32 v64, 0xbe11bafb, v64
	v_mul_f32_e32 v51, 0xbe11bafb, v65
	v_add_f32_e32 v37, v49, v37
	v_add_f32_e32 v45, v54, v45
	;; [unrolled: 1-line block ×3, first 2 shown]
	v_sub_f32_e32 v46, v57, v52
	v_mul_f32_e32 v44, 0xbf75a155, v67
	v_mul_f32_e32 v65, 0xbf75a155, v68
	v_add_f32_e32 v21, v25, v21
	v_add_f32_e32 v24, v55, v73
	;; [unrolled: 1-line block ×3, first 2 shown]
	v_sub_f32_e32 v19, v56, v53
	v_add_f32_e32 v13, v13, v17
	v_add_f32_e32 v12, v12, v16
	v_mul_f32_e32 v49, 0x3f575c64, v67
	v_mul_f32_e32 v50, 0x3f575c64, v68
	v_add_f32_e32 v37, v45, v37
	v_add_f32_e32 v45, v63, v51
	;; [unrolled: 1-line block ×3, first 2 shown]
	v_sub_f32_e32 v29, v64, v58
	v_add_f32_e32 v20, v24, v21
	v_add_f32_e32 v16, v61, v65
	;; [unrolled: 1-line block ×3, first 2 shown]
	v_sub_f32_e32 v18, v44, v59
	v_add_f32_e32 v15, v15, v13
	v_add_f32_e32 v14, v14, v12
	;; [unrolled: 1-line block ×5, first 2 shown]
	v_sub_f32_e32 v19, v49, v62
	v_add_f32_e32 v13, v16, v20
	v_add_f32_e32 v12, v18, v17
	;; [unrolled: 1-line block ×4, first 2 shown]
	v_lshlrev_b32_e32 v16, 3, v167
	v_add_f32_e32 v22, v45, v37
	v_add_f32_e32 v21, v19, v29
	ds_write2_b64 v16, v[14:15], v[12:13] offset1:1
	ds_write2_b64 v16, v[21:22], v[42:43] offset0:2 offset1:3
	ds_write2_b64 v16, v[8:9], v[10:11] offset0:4 offset1:5
	;; [unrolled: 1-line block ×4, first 2 shown]
	ds_write_b64 v16, v[143:144] offset:80
.LBB0_7:
	s_or_b32 exec_lo, exec_lo, s0
	v_add_nc_u32_e32 v20, 0x1c00, v165
	v_add_nc_u32_e32 v12, 0x1400, v165
	;; [unrolled: 1-line block ×6, first 2 shown]
	s_waitcnt lgkmcnt(0)
	s_barrier
	buffer_gl0_inv
	ds_read2_b64 v[16:19], v165 offset1:110
	ds_read2_b64 v[12:15], v12 offset0:20 offset1:185
	ds_read2_b64 v[24:27], v20 offset0:39 offset1:149
	;; [unrolled: 1-line block ×6, first 2 shown]
	v_cmp_gt_u16_e64 s0, 55, v166
	s_and_saveexec_b32 s1, s0
	s_cbranch_execz .LBB0_9
; %bb.8:
	ds_read_b64 v[42:43], v165 offset:6160
	ds_read_b64 v[8:9], v165 offset:12760
.LBB0_9:
	s_or_b32 exec_lo, exec_lo, s1
	v_and_b32_e32 v40, 0xff, v166
	v_add_co_u32 v41, null, 0x1b8, v166
	v_add_co_u32 v47, null, 0x226, v166
	v_mul_lo_u16 v45, 0x75, v40
	v_and_b32_e32 v40, 0xff, v60
	v_mov_b32_e32 v48, 0xba2f
	v_add_co_u32 v51, null, 0x294, v166
	v_lshrrev_b16 v46, 8, v45
	v_mul_lo_u16 v49, 0x75, v40
	v_add_nc_u16 v52, v166, 0x302
	v_mul_u32_u24_sdwa v45, v41, v48 dst_sel:DWORD dst_unused:UNUSED_PAD src0_sel:WORD_0 src1_sel:DWORD
	v_mul_u32_u24_sdwa v53, v47, v48 dst_sel:DWORD dst_unused:UNUSED_PAD src0_sel:WORD_0 src1_sel:DWORD
	v_sub_nc_u16 v50, v166, v46
	v_lshrrev_b16 v49, 8, v49
	v_mul_u32_u24_sdwa v54, v51, v48 dst_sel:DWORD dst_unused:UNUSED_PAD src0_sel:WORD_0 src1_sel:DWORD
	v_mul_u32_u24_sdwa v55, v52, v48 dst_sel:DWORD dst_unused:UNUSED_PAD src0_sel:WORD_0 src1_sel:DWORD
	v_lshrrev_b32_e32 v58, 19, v45
	v_lshrrev_b16 v50, 1, v50
	v_sub_nc_u16 v57, v60, v49
	v_lshrrev_b32_e32 v53, 19, v53
	v_lshrrev_b32_e32 v54, 19, v54
	v_mov_b32_e32 v61, 3
	v_and_b32_e32 v50, 0x7f, v50
	v_lshrrev_b16 v57, 1, v57
	v_mul_lo_u16 v59, v53, 11
	v_mul_lo_u16 v62, v54, 11
	v_add_co_u32 v56, s1, 0xdc, v166
	v_add_nc_u16 v46, v50, v46
	v_lshrrev_b32_e32 v50, 19, v55
	v_mul_lo_u16 v55, v58, 11
	v_and_b32_e32 v57, 0x7f, v57
	v_sub_nc_u16 v59, v47, v59
	v_sub_nc_u16 v51, v51, v62
	v_mul_lo_u16 v63, v50, 11
	v_sub_nc_u16 v55, v41, v55
	v_add_nc_u16 v49, v57, v49
	v_lshlrev_b32_sdwa v57, v61, v59 dst_sel:DWORD dst_unused:UNUSED_PAD src0_sel:DWORD src1_sel:WORD_0
	v_add_co_u32 v44, null, 0x14a, v166
	v_sub_nc_u16 v52, v52, v63
	v_lshlrev_b32_sdwa v47, v61, v55 dst_sel:DWORD dst_unused:UNUSED_PAD src0_sel:DWORD src1_sel:WORD_0
	v_lshlrev_b32_sdwa v62, v61, v51 dst_sel:DWORD dst_unused:UNUSED_PAD src0_sel:DWORD src1_sel:WORD_0
	v_lshrrev_b16 v64, 3, v46
	v_lshrrev_b16 v49, 3, v49
	v_lshlrev_b32_sdwa v63, v61, v52 dst_sel:DWORD dst_unused:UNUSED_PAD src0_sel:DWORD src1_sel:WORD_0
	s_clause 0x1
	global_load_dwordx2 v[149:150], v47, s[4:5]
	global_load_dwordx2 v[151:152], v57, s[4:5]
	v_mul_u32_u24_sdwa v47, v56, v48 dst_sel:DWORD dst_unused:UNUSED_PAD src0_sel:WORD_0 src1_sel:DWORD
	s_clause 0x1
	global_load_dwordx2 v[147:148], v62, s[4:5]
	global_load_dwordx2 v[145:146], v63, s[4:5]
	v_mul_lo_u16 v62, v64, 11
	v_mul_u32_u24_sdwa v46, v44, v48 dst_sel:DWORD dst_unused:UNUSED_PAD src0_sel:WORD_0 src1_sel:DWORD
	v_mul_lo_u16 v48, v49, 11
	v_lshrrev_b32_e32 v63, 19, v47
	v_mad_u16 v51, v54, 22, v51
	v_sub_nc_u16 v62, v166, v62
	v_lshrrev_b32_e32 v65, 19, v46
	v_sub_nc_u16 v48, v60, v48
	v_mul_lo_u16 v66, v63, 11
	v_mad_u16 v53, v53, 22, v59
	v_and_b32_e32 v62, 0xff, v62
	v_mul_lo_u16 v67, v65, 11
	v_and_b32_e32 v48, 0xff, v48
	v_sub_nc_u16 v66, v56, v66
	v_mad_u16 v55, v58, 22, v55
	v_lshlrev_b32_e32 v68, 3, v62
	v_sub_nc_u16 v67, v44, v67
	v_lshlrev_b32_e32 v69, 3, v48
	v_lshlrev_b32_sdwa v70, v61, v66 dst_sel:DWORD dst_unused:UNUSED_PAD src0_sel:DWORD src1_sel:WORD_0
	v_mad_u16 v168, v50, 22, v52
	global_load_dwordx2 v[159:160], v68, s[4:5]
	v_lshlrev_b32_sdwa v68, v61, v67 dst_sel:DWORD dst_unused:UNUSED_PAD src0_sel:DWORD src1_sel:WORD_0
	s_clause 0x2
	global_load_dwordx2 v[157:158], v69, s[4:5]
	global_load_dwordx2 v[155:156], v70, s[4:5]
	;; [unrolled: 1-line block ×3, first 2 shown]
	v_mov_b32_e32 v68, 22
	v_lshlrev_b32_sdwa v169, v61, v51 dst_sel:DWORD dst_unused:UNUSED_PAD src0_sel:DWORD src1_sel:WORD_0
	v_lshlrev_b32_sdwa v170, v61, v53 dst_sel:DWORD dst_unused:UNUSED_PAD src0_sel:DWORD src1_sel:WORD_0
	;; [unrolled: 1-line block ×3, first 2 shown]
	v_mad_u16 v63, v63, 22, v66
	v_mul_u32_u24_sdwa v49, v49, v68 dst_sel:DWORD dst_unused:UNUSED_PAD src0_sel:WORD_0 src1_sel:DWORD
	v_mul_u32_u24_sdwa v50, v64, v68 dst_sel:DWORD dst_unused:UNUSED_PAD src0_sel:WORD_0 src1_sel:DWORD
	v_mad_u16 v65, v65, 22, v67
	v_add_co_ci_u32_e64 v57, null, 0, 0, s1
	v_add_lshl_u32 v174, v49, v48, 3
	v_add_lshl_u32 v175, v50, v62, 3
	v_lshlrev_b32_sdwa v173, v61, v63 dst_sel:DWORD dst_unused:UNUSED_PAD src0_sel:DWORD src1_sel:WORD_0
	v_lshlrev_b32_sdwa v172, v61, v65 dst_sel:DWORD dst_unused:UNUSED_PAD src0_sel:DWORD src1_sel:WORD_0
	s_waitcnt vmcnt(0) lgkmcnt(0)
	s_barrier
	buffer_gl0_inv
	v_mul_f32_e32 v49, v30, v150
	v_mul_f32_e32 v51, v36, v152
	;; [unrolled: 1-line block ×5, first 2 shown]
	v_fmac_f32_e32 v49, v31, v149
	v_mul_f32_e32 v50, v37, v152
	v_fmac_f32_e32 v51, v37, v151
	v_mul_f32_e32 v52, v39, v148
	;; [unrolled: 2-line block ×3, first 2 shown]
	v_fmac_f32_e32 v55, v9, v145
	v_fma_f32 v30, v30, v149, -v48
	v_sub_f32_e32 v31, v33, v49
	v_fma_f32 v36, v36, v151, -v50
	v_sub_f32_e32 v37, v35, v51
	;; [unrolled: 2-line block ×4, first 2 shown]
	v_sub_f32_e32 v30, v32, v30
	v_sub_f32_e32 v36, v34, v36
	;; [unrolled: 1-line block ×4, first 2 shown]
	v_mul_f32_e32 v48, v15, v160
	v_mul_f32_e32 v49, v14, v160
	;; [unrolled: 1-line block ×8, first 2 shown]
	v_fma_f32 v14, v14, v159, -v48
	v_fmac_f32_e32 v49, v15, v159
	v_fma_f32 v24, v24, v157, -v50
	v_fmac_f32_e32 v51, v25, v157
	;; [unrolled: 2-line block ×4, first 2 shown]
	v_sub_f32_e32 v14, v16, v14
	v_sub_f32_e32 v15, v17, v49
	;; [unrolled: 1-line block ×8, first 2 shown]
	v_fma_f32 v16, v16, 2.0, -v14
	v_fma_f32 v17, v17, 2.0, -v15
	;; [unrolled: 1-line block ×14, first 2 shown]
	ds_write2_b64 v175, v[16:17], v[14:15] offset1:11
	ds_write2_b64 v174, v[18:19], v[24:25] offset1:11
	;; [unrolled: 1-line block ×7, first 2 shown]
	s_and_saveexec_b32 s1, s0
	s_cbranch_execz .LBB0_11
; %bb.10:
	v_fma_f32 v13, v43, 2.0, -v9
	v_fma_f32 v12, v42, 2.0, -v8
	v_lshlrev_b32_sdwa v14, v61, v168 dst_sel:DWORD dst_unused:UNUSED_PAD src0_sel:DWORD src1_sel:WORD_0
	ds_write2_b64 v14, v[12:13], v[8:9] offset1:11
.LBB0_11:
	s_or_b32 exec_lo, exec_lo, s1
	v_lshrrev_b32_e32 v63, 20, v47
	v_lshrrev_b32_e32 v66, 20, v46
	v_lshrrev_b16 v13, 1, v166
	v_lshrrev_b32_e32 v74, 20, v45
	s_waitcnt lgkmcnt(0)
	v_mul_lo_u16 v12, v63, 22
	v_mul_lo_u16 v14, v66, 22
	v_and_b32_e32 v13, 0x7f, v13
	v_mul_lo_u16 v15, v74, 22
	s_barrier
	v_sub_nc_u16 v75, v56, v12
	v_lshrrev_b16 v12, 1, v40
	v_sub_nc_u16 v76, v44, v14
	v_mul_lo_u16 v14, 0xbb, v13
	v_sub_nc_u16 v77, v41, v15
	v_lshlrev_b16 v16, 4, v75
	v_mul_lo_u16 v12, 0xbb, v12
	v_lshlrev_b16 v15, 4, v76
	v_lshrrev_b16 v79, 11, v14
	buffer_gl0_inv
	v_and_b32_e32 v13, 0xffff, v16
	v_lshrrev_b16 v78, 11, v12
	v_lshlrev_b16 v16, 4, v77
	v_mul_lo_u16 v28, v79, 22
	v_and_b32_e32 v14, 0xffff, v15
	v_add_co_u32 v12, s1, s4, v13
	v_mul_lo_u16 v17, v78, 22
	v_add_co_ci_u32_e64 v13, null, s5, 0, s1
	v_and_b32_e32 v15, 0xffff, v16
	v_sub_nc_u16 v28, v166, v28
	v_sub_nc_u16 v16, v60, v17
	global_load_dwordx4 v[20:23], v[12:13], off offset:88
	v_add_co_u32 v12, s1, s4, v14
	v_add_co_ci_u32_e64 v13, null, s5, 0, s1
	v_and_b32_e32 v80, 0xff, v16
	v_add_co_u32 v14, s1, s4, v15
	v_and_b32_e32 v81, 0xff, v28
	v_add_co_ci_u32_e64 v15, null, s5, 0, s1
	v_lshlrev_b32_e32 v24, 4, v80
	global_load_dwordx4 v[16:19], v[12:13], off offset:88
	v_lshlrev_b32_e32 v28, 4, v81
	s_clause 0x1
	global_load_dwordx4 v[12:15], v[14:15], off offset:88
	global_load_dwordx4 v[24:27], v24, s[4:5] offset:88
	v_add_co_u32 v54, s1, 0xffffffbe, v166
	global_load_dwordx4 v[28:31], v28, s[4:5] offset:88
	v_add_nc_u32_e32 v90, 0xc00, v165
	v_add_nc_u32_e32 v94, 0x400, v165
	;; [unrolled: 1-line block ×3, first 2 shown]
	v_mul_lo_u16 v52, 0xf9, v40
	v_mov_b32_e32 v53, 0xf83f
	v_add_co_ci_u32_e64 v55, null, 0, -1, s1
	v_cmp_gt_u16_e64 s1, 0x42, v166
	v_add_nc_u32_e32 v93, 0x2000, v165
	v_add_nc_u32_e32 v95, 0x1800, v165
	;; [unrolled: 1-line block ×3, first 2 shown]
	ds_read2_b64 v[32:35], v165 offset1:110
	ds_read_b64 v[64:65], v165 offset:12320
	ds_read2_b64 v[36:39], v90 offset0:56 offset1:166
	ds_read2_b64 v[40:43], v93 offset0:76 offset1:186
	;; [unrolled: 1-line block ×4, first 2 shown]
	v_cndmask_b32_e64 v58, v54, v166, s1
	v_lshrrev_b16 v67, 14, v52
	v_mul_u32_u24_sdwa v62, v56, v53 dst_sel:DWORD dst_unused:UNUSED_PAD src0_sel:WORD_0 src1_sel:DWORD
	v_cndmask_b32_e64 v59, v55, 0, s1
	ds_read2_b64 v[52:55], v92 offset0:40 offset1:150
	ds_read2_b64 v[68:71], v95 offset0:112 offset1:222
	v_mov_b32_e32 v82, 0x42
	v_mul_lo_u16 v83, 0x42, v67
	v_mad_u16 v66, 0x42, v66, v76
	v_lshlrev_b64 v[72:73], 5, v[58:59]
	v_mad_u16 v59, 0x42, v63, v75
	v_mul_u32_u24_sdwa v78, v78, v82 dst_sel:DWORD dst_unused:UNUSED_PAD src0_sel:WORD_0 src1_sel:DWORD
	v_mad_u16 v74, 0x42, v74, v77
	v_sub_nc_u16 v75, v60, v83
	v_mul_u32_u24_sdwa v76, v79, v82 dst_sel:DWORD dst_unused:UNUSED_PAD src0_sel:WORD_0 src1_sel:DWORD
	v_lshlrev_b32_sdwa v179, v61, v59 dst_sel:DWORD dst_unused:UNUSED_PAD src0_sel:DWORD src1_sel:WORD_0
	v_add_lshl_u32 v180, v78, v80, 3
	v_lshlrev_b32_sdwa v177, v61, v74 dst_sel:DWORD dst_unused:UNUSED_PAD src0_sel:DWORD src1_sel:WORD_0
	v_and_b32_e32 v59, 0xff, v75
	v_add_lshl_u32 v181, v76, v81, 3
	v_lshrrev_b32_e32 v62, 22, v62
	v_lshlrev_b32_sdwa v178, v61, v66 dst_sel:DWORD dst_unused:UNUSED_PAD src0_sel:DWORD src1_sel:WORD_0
	v_add_co_u32 v72, s1, s4, v72
	s_waitcnt vmcnt(0) lgkmcnt(0)
	v_mul_lo_u16 v63, 0x42, v62
	s_barrier
	buffer_gl0_inv
	v_add_co_ci_u32_e64 v73, s1, s5, v73, s1
	v_sub_nc_u16 v63, v56, v63
	v_lshlrev_b32_e32 v60, 5, v60
	v_lshlrev_b64 v[56:57], 5, v[56:57]
	v_lshlrev_b16 v66, 5, v63
	v_mul_f32_e32 v74, v47, v21
	v_mul_f32_e32 v75, v46, v21
	;; [unrolled: 1-line block ×4, first 2 shown]
	v_fma_f32 v46, v46, v20, -v74
	v_fmac_f32_e32 v75, v47, v20
	v_fma_f32 v47, v52, v22, -v76
	v_fmac_f32_e32 v77, v53, v22
	v_mul_f32_e32 v78, v69, v17
	v_mul_f32_e32 v79, v68, v17
	;; [unrolled: 1-line block ×11, first 2 shown]
	v_fma_f32 v52, v68, v16, -v78
	v_fmac_f32_e32 v79, v69, v16
	v_fma_f32 v53, v54, v18, -v80
	v_fmac_f32_e32 v81, v55, v18
	v_fma_f32 v54, v70, v12, -v82
	v_fma_f32 v55, v64, v14, -v84
	v_fmac_f32_e32 v85, v65, v14
	v_mul_f32_e32 v64, v39, v29
	v_mul_f32_e32 v65, v38, v29
	;; [unrolled: 1-line block ×5, first 2 shown]
	v_fmac_f32_e32 v83, v71, v12
	v_fmac_f32_e32 v87, v45, v24
	v_fma_f32 v70, v42, v26, -v88
	v_fmac_f32_e32 v89, v43, v26
	v_add_f32_e32 v42, v48, v46
	v_add_f32_e32 v43, v46, v47
	v_sub_f32_e32 v71, v75, v77
	v_add_f32_e32 v45, v49, v75
	v_add_f32_e32 v74, v75, v77
	v_sub_f32_e32 v75, v46, v47
	v_add_f32_e32 v46, v50, v52
	v_add_f32_e32 v76, v52, v53
	;; [unrolled: 1-line block ×3, first 2 shown]
	v_sub_f32_e32 v82, v52, v53
	v_add_f32_e32 v52, v36, v54
	v_add_f32_e32 v84, v54, v55
	v_sub_f32_e32 v96, v54, v55
	v_fma_f32 v54, v38, v28, -v64
	v_fmac_f32_e32 v65, v39, v28
	v_fma_f32 v64, v40, v30, -v68
	v_fmac_f32_e32 v69, v41, v30
	v_fma_f32 v44, v44, v24, -v86
	v_sub_f32_e32 v78, v79, v81
	v_add_f32_e32 v79, v79, v81
	v_fma_f32 v40, -0.5, v43, v48
	v_fma_f32 v50, -0.5, v76, v50
	v_add_f32_e32 v43, v80, v81
	v_add_f32_e32 v76, v54, v64
	;; [unrolled: 1-line block ×4, first 2 shown]
	v_sub_f32_e32 v98, v87, v89
	v_add_f32_e32 v99, v35, v87
	v_add_f32_e32 v87, v87, v89
	v_sub_f32_e32 v86, v83, v85
	v_add_f32_e32 v88, v37, v83
	v_add_f32_e32 v83, v83, v85
	;; [unrolled: 1-line block ×4, first 2 shown]
	v_fma_f32 v41, -0.5, v74, v49
	v_fmac_f32_e32 v51, -0.5, v79
	v_add_f32_e32 v74, v32, v54
	v_sub_f32_e32 v77, v65, v69
	v_add_f32_e32 v79, v33, v65
	v_sub_f32_e32 v81, v54, v64
	v_fma_f32 v32, -0.5, v76, v32
	v_fma_f32 v33, -0.5, v80, v33
	v_sub_f32_e32 v100, v44, v70
	v_fma_f32 v34, -0.5, v97, v34
	v_fmac_f32_e32 v35, -0.5, v87
	v_add_f32_e32 v38, v42, v47
	v_add_f32_e32 v42, v46, v53
	v_fma_f32 v36, -0.5, v84, v36
	v_fmac_f32_e32 v37, -0.5, v83
	v_add_f32_e32 v46, v68, v70
	v_fmamk_f32 v48, v71, 0x3f5db3d7, v40
	v_fmac_f32_e32 v40, 0xbf5db3d7, v71
	v_add_f32_e32 v64, v74, v64
	v_add_f32_e32 v65, v79, v69
	v_fmamk_f32 v70, v77, 0x3f5db3d7, v32
	v_fmamk_f32 v71, v81, 0xbf5db3d7, v33
	v_fmac_f32_e32 v32, 0xbf5db3d7, v77
	v_fmac_f32_e32 v33, 0x3f5db3d7, v81
	v_add_f32_e32 v47, v99, v89
	v_fmamk_f32 v68, v98, 0x3f5db3d7, v34
	v_fmamk_f32 v69, v100, 0xbf5db3d7, v35
	v_fmac_f32_e32 v34, 0xbf5db3d7, v98
	v_fmac_f32_e32 v35, 0x3f5db3d7, v100
	v_fmamk_f32 v49, v75, 0xbf5db3d7, v41
	v_add_f32_e32 v44, v52, v55
	v_add_f32_e32 v45, v88, v85
	v_fmac_f32_e32 v41, 0x3f5db3d7, v75
	v_fmamk_f32 v52, v78, 0x3f5db3d7, v50
	v_fmac_f32_e32 v50, 0xbf5db3d7, v78
	v_fmamk_f32 v53, v82, 0xbf5db3d7, v51
	;; [unrolled: 2-line block ×4, first 2 shown]
	v_fmac_f32_e32 v37, 0x3f5db3d7, v96
	ds_write2_b64 v181, v[64:65], v[70:71] offset1:22
	ds_write_b64 v181, v[32:33] offset:352
	ds_write2_b64 v180, v[46:47], v[68:69] offset1:22
	ds_write_b64 v180, v[34:35] offset:352
	;; [unrolled: 2-line block ×5, first 2 shown]
	v_and_b32_e32 v32, 0xffff, v66
	v_lshlrev_b32_e32 v34, 5, v59
	s_waitcnt lgkmcnt(0)
	s_barrier
	buffer_gl0_inv
	v_add_co_u32 v32, s1, s4, v32
	global_load_dwordx4 v[52:55], v[72:73], off offset:440
	v_add_co_ci_u32_e64 v33, null, s5, 0, s1
	s_clause 0x4
	global_load_dwordx4 v[48:51], v[72:73], off offset:456
	global_load_dwordx4 v[44:47], v34, s[4:5] offset:440
	global_load_dwordx4 v[36:39], v34, s[4:5] offset:456
	global_load_dwordx4 v[40:43], v[32:33], off offset:440
	global_load_dwordx4 v[32:35], v[32:33], off offset:456
	v_lshlrev_b32_e32 v64, 5, v166
	v_cmp_lt_u16_e64 s1, 0x41, v166
	v_mov_b32_e32 v68, 0x14a
	v_mad_u16 v89, 0x14a, v62, v63
	v_cndmask_b32_e64 v69, 0, 0x14a, s1
	v_add_co_u32 v75, s1, s4, v64
	v_add_co_ci_u32_e64 v76, null, s5, 0, s1
	v_add_co_u32 v60, s1, s4, v60
	v_add_co_ci_u32_e64 v66, null, s5, 0, s1
	v_add_co_u32 v64, s1, s4, v56
	v_add_co_ci_u32_e64 v65, s1, s5, v57, s1
	v_add_co_u32 v56, s1, 0x9f8, v75
	v_add_co_ci_u32_e64 v57, s1, 0, v76, s1
	v_add_co_u32 v87, s1, 0x800, v75
	v_add_lshl_u32 v182, v58, v69, 3
	v_mul_u32_u24_sdwa v58, v67, v68 dst_sel:DWORD dst_unused:UNUSED_PAD src0_sel:WORD_0 src1_sel:DWORD
	ds_read2_b64 v[67:70], v94 offset0:92 offset1:202
	ds_read2_b64 v[71:74], v91 offset0:20 offset1:130
	v_add_co_ci_u32_e64 v88, s1, 0, v76, s1
	ds_read2_b64 v[75:78], v95 offset0:112 offset1:222
	ds_read2_b64 v[79:82], v92 offset0:40 offset1:150
	ds_read2_b64 v[83:86], v90 offset0:56 offset1:166
	ds_read2_b64 v[96:99], v93 offset0:76 offset1:186
	v_add_lshl_u32 v184, v58, v59, 3
	ds_read2_b64 v[100:103], v165 offset1:110
	ds_read_b64 v[58:59], v165 offset:12320
	v_lshlrev_b32_sdwa v183, v61, v89 dst_sel:DWORD dst_unused:UNUSED_PAD src0_sel:DWORD src1_sel:WORD_0
	v_add_co_u32 v62, s1, 0x800, v60
	v_add_co_ci_u32_e64 v63, s1, 0, v66, s1
	s_waitcnt vmcnt(0) lgkmcnt(0)
	s_barrier
	buffer_gl0_inv
	v_mul_f32_e32 v61, v70, v53
	v_mul_f32_e32 v104, v72, v55
	v_mul_f32_e32 v105, v71, v55
	v_mul_f32_e32 v106, v78, v49
	v_mul_f32_e32 v107, v77, v49
	v_mul_f32_e32 v89, v69, v53
	v_mul_f32_e32 v161, v80, v51
	v_mul_f32_e32 v162, v79, v51
	v_mul_f32_e32 v163, v84, v45
	v_mul_f32_e32 v185, v74, v47
	v_mul_f32_e32 v186, v73, v47
	v_mul_f32_e32 v187, v97, v37
	v_mul_f32_e32 v188, v96, v37
	v_mul_f32_e32 v164, v83, v45
	v_mul_f32_e32 v189, v82, v39
	v_mul_f32_e32 v190, v81, v39
	v_mul_f32_e32 v191, v86, v41
	v_mul_f32_e32 v193, v76, v43
	v_mul_f32_e32 v194, v75, v43
	v_mul_f32_e32 v195, v99, v33
	v_mul_f32_e32 v196, v98, v33
	v_mul_f32_e32 v192, v85, v41
	v_mul_f32_e32 v197, v59, v35
	v_mul_f32_e32 v198, v58, v35
	v_fma_f32 v61, v69, v52, -v61
	v_fma_f32 v69, v71, v54, -v104
	v_fmac_f32_e32 v105, v72, v54
	v_fma_f32 v77, v77, v48, -v106
	v_fmac_f32_e32 v107, v78, v48
	v_fmac_f32_e32 v89, v70, v52
	v_fma_f32 v104, v79, v50, -v161
	v_fmac_f32_e32 v162, v80, v50
	v_fma_f32 v70, v83, v44, -v163
	v_fma_f32 v71, v73, v46, -v185
	v_fmac_f32_e32 v186, v74, v46
	v_fma_f32 v79, v96, v36, -v187
	v_fmac_f32_e32 v188, v97, v36
	v_fmac_f32_e32 v164, v84, v44
	v_fma_f32 v106, v81, v38, -v189
	v_fmac_f32_e32 v190, v82, v38
	;; [unrolled: 8-line block ×3, first 2 shown]
	v_add_f32_e32 v58, v100, v61
	v_add_f32_e32 v59, v69, v77
	;; [unrolled: 1-line block ×4, first 2 shown]
	v_sub_f32_e32 v78, v69, v61
	v_sub_f32_e32 v80, v77, v104
	v_add_f32_e32 v81, v101, v89
	v_add_f32_e32 v86, v89, v162
	;; [unrolled: 1-line block ×5, first 2 shown]
	v_sub_f32_e32 v74, v61, v69
	v_sub_f32_e32 v75, v104, v77
	v_sub_f32_e32 v84, v89, v105
	v_sub_f32_e32 v85, v162, v107
	v_add_f32_e32 v195, v70, v106
	v_add_f32_e32 v200, v103, v164
	;; [unrolled: 1-line block ×6, first 2 shown]
	v_sub_f32_e32 v97, v89, v162
	v_sub_f32_e32 v61, v61, v104
	v_add_f32_e32 v214, v72, v161
	v_add_f32_e32 v217, v68, v192
	;; [unrolled: 1-line block ×4, first 2 shown]
	v_fma_f32 v58, -0.5, v59, v100
	v_fma_f32 v59, -0.5, v82, v101
	v_sub_f32_e32 v98, v105, v107
	v_sub_f32_e32 v99, v69, v77
	;; [unrolled: 1-line block ×7, first 2 shown]
	v_add_f32_e32 v227, v78, v80
	v_add_f32_e32 v78, v81, v105
	v_fma_f32 v69, -0.5, v76, v100
	v_fma_f32 v70, -0.5, v86, v101
	v_sub_f32_e32 v187, v164, v190
	v_sub_f32_e32 v203, v71, v79
	;; [unrolled: 1-line block ×5, first 2 shown]
	v_add_f32_e32 v80, v163, v71
	v_fma_f32 v71, -0.5, v185, v102
	v_fma_f32 v72, -0.5, v201, v103
	v_sub_f32_e32 v189, v186, v188
	v_sub_f32_e32 v210, v192, v198
	;; [unrolled: 1-line block ×3, first 2 shown]
	v_add_f32_e32 v226, v74, v75
	v_add_f32_e32 v105, v84, v85
	v_fma_f32 v102, -0.5, v195, v102
	v_add_f32_e32 v82, v200, v186
	v_fmac_f32_e32 v103, -0.5, v206
	v_add_f32_e32 v84, v208, v73
	v_fma_f32 v73, -0.5, v209, v67
	v_fma_f32 v74, -0.5, v218, v68
	v_sub_f32_e32 v211, v194, v196
	v_fma_f32 v67, -0.5, v214, v67
	v_add_f32_e32 v86, v217, v194
	v_fmac_f32_e32 v68, -0.5, v223
	v_fmamk_f32 v75, v97, 0x3f737871, v58
	v_fmamk_f32 v76, v61, 0xbf737871, v59
	v_add_f32_e32 v89, v89, v96
	v_add_f32_e32 v96, v225, v77
	v_fmamk_f32 v77, v98, 0xbf737871, v69
	v_fmac_f32_e32 v69, 0x3f737871, v98
	v_add_f32_e32 v100, v78, v107
	v_fmamk_f32 v78, v99, 0x3f737871, v70
	v_fmac_f32_e32 v70, 0xbf737871, v99
	v_fmac_f32_e32 v58, 0xbf737871, v97
	;; [unrolled: 1-line block ×3, first 2 shown]
	v_sub_f32_e32 v193, v106, v79
	v_sub_f32_e32 v199, v79, v106
	;; [unrolled: 1-line block ×4, first 2 shown]
	v_add_f32_e32 v101, v80, v79
	v_fmamk_f32 v79, v187, 0x3f737871, v71
	v_fmamk_f32 v80, v202, 0xbf737871, v72
	v_sub_f32_e32 v164, v186, v164
	v_sub_f32_e32 v207, v188, v190
	;; [unrolled: 1-line block ×6, first 2 shown]
	v_fmamk_f32 v81, v189, 0xbf737871, v102
	v_fmac_f32_e32 v102, 0x3f737871, v189
	v_add_f32_e32 v107, v82, v188
	v_fmac_f32_e32 v72, 0x3f737871, v202
	v_fmamk_f32 v82, v203, 0x3f737871, v103
	v_fmac_f32_e32 v103, 0xbf737871, v203
	v_add_f32_e32 v188, v84, v83
	v_fmamk_f32 v83, v210, 0x3f737871, v73
	v_fmac_f32_e32 v73, 0xbf737871, v210
	v_fmamk_f32 v84, v219, 0xbf737871, v74
	v_fmac_f32_e32 v74, 0x3f737871, v219
	v_sub_f32_e32 v192, v194, v192
	v_sub_f32_e32 v224, v196, v198
	v_fmac_f32_e32 v71, 0xbf737871, v187
	v_fmamk_f32 v85, v211, 0xbf737871, v67
	v_fmac_f32_e32 v67, 0x3f737871, v211
	v_add_f32_e32 v195, v86, v196
	v_fmamk_f32 v86, v220, 0x3f737871, v68
	v_fmac_f32_e32 v68, 0xbf737871, v220
	v_fmac_f32_e32 v75, 0x3f167918, v98
	;; [unrolled: 1-line block ×9, first 2 shown]
	v_add_f32_e32 v163, v191, v193
	v_add_f32_e32 v186, v204, v205
	v_fmac_f32_e32 v79, 0x3f167918, v189
	v_fmac_f32_e32 v80, 0xbf167918, v203
	v_add_f32_e32 v185, v197, v199
	v_add_f32_e32 v164, v164, v207
	v_add_f32_e32 v191, v212, v213
	v_add_f32_e32 v194, v221, v222
	v_fmac_f32_e32 v81, 0x3f167918, v187
	v_fmac_f32_e32 v102, 0xbf167918, v187
	;; [unrolled: 1-line block ×7, first 2 shown]
	v_add_f32_e32 v193, v215, v216
	v_add_f32_e32 v192, v192, v224
	;; [unrolled: 1-line block ×4, first 2 shown]
	v_fmac_f32_e32 v71, 0xbf167918, v189
	v_fmac_f32_e32 v83, 0x3f167918, v211
	;; [unrolled: 1-line block ×15, first 2 shown]
	v_add_f32_e32 v98, v101, v106
	v_add_f32_e32 v99, v107, v190
	v_fmac_f32_e32 v79, 0x3e9e377a, v163
	v_fmac_f32_e32 v80, 0x3e9e377a, v186
	v_fmac_f32_e32 v81, 0x3e9e377a, v185
	v_fmac_f32_e32 v102, 0x3e9e377a, v185
	v_fmac_f32_e32 v72, 0x3e9e377a, v186
	v_fmac_f32_e32 v82, 0x3e9e377a, v164
	v_fmac_f32_e32 v103, 0x3e9e377a, v164
	v_fmac_f32_e32 v73, 0x3e9e377a, v191
	v_fmac_f32_e32 v74, 0x3e9e377a, v194
	v_add_f32_e32 v100, v188, v161
	v_add_f32_e32 v101, v195, v198
	v_fmac_f32_e32 v71, 0x3e9e377a, v163
	v_fmac_f32_e32 v83, 0x3e9e377a, v191
	v_fmac_f32_e32 v85, 0x3e9e377a, v193
	v_fmac_f32_e32 v67, 0x3e9e377a, v193
	v_fmac_f32_e32 v84, 0x3e9e377a, v194
	v_fmac_f32_e32 v86, 0x3e9e377a, v192
	v_fmac_f32_e32 v68, 0x3e9e377a, v192
	ds_write2_b64 v182, v[96:97], v[75:76] offset1:66
	ds_write2_b64 v182, v[77:78], v[69:70] offset0:132 offset1:198
	ds_write_b64 v182, v[58:59] offset:2112
	ds_write2_b64 v184, v[98:99], v[79:80] offset1:66
	ds_write2_b64 v184, v[81:82], v[102:103] offset0:132 offset1:198
	ds_write_b64 v184, v[71:72] offset:2112
	ds_write2_b64 v183, v[100:101], v[83:84] offset1:66
	ds_write2_b64 v183, v[85:86], v[67:68] offset0:132 offset1:198
	ds_write_b64 v183, v[73:74] offset:2112
	s_waitcnt lgkmcnt(0)
	s_barrier
	buffer_gl0_inv
	s_clause 0x1
	global_load_dwordx4 v[76:79], v[87:88], off offset:504
	global_load_dwordx4 v[72:75], v[56:57], off offset:16
	v_add_co_u32 v56, s1, 0x9f8, v60
	v_add_co_ci_u32_e64 v57, s1, 0, v66, s1
	v_add_co_u32 v58, s1, 0x800, v64
	v_add_co_ci_u32_e64 v59, s1, 0, v65, s1
	s_clause 0x1
	global_load_dwordx4 v[68:71], v[62:63], off offset:504
	global_load_dwordx4 v[60:63], v[56:57], off offset:16
	v_add_co_u32 v56, s1, 0x9f8, v64
	v_add_co_ci_u32_e64 v57, s1, 0, v65, s1
	s_clause 0x1
	global_load_dwordx4 v[64:67], v[58:59], off offset:504
	global_load_dwordx4 v[56:59], v[56:57], off offset:16
	ds_read2_b64 v[80:83], v94 offset0:92 offset1:202
	ds_read2_b64 v[84:87], v91 offset0:20 offset1:130
	;; [unrolled: 1-line block ×6, first 2 shown]
	ds_read2_b64 v[189:192], v165 offset1:110
	ds_read_b64 v[163:164], v165 offset:12320
	v_add_co_u32 v88, s1, 0x3390, v118
	v_add_co_ci_u32_e64 v89, s1, 0, v119, s1
	v_add_co_u32 v161, s1, 0x3000, v118
	v_add_co_ci_u32_e64 v162, s1, 0, v119, s1
	s_waitcnt vmcnt(5) lgkmcnt(7)
	v_mul_f32_e32 v193, v83, v77
	v_mul_f32_e32 v194, v82, v77
	s_waitcnt lgkmcnt(6)
	v_mul_f32_e32 v195, v85, v79
	v_mul_f32_e32 v196, v84, v79
	s_waitcnt vmcnt(4) lgkmcnt(5)
	v_mul_f32_e32 v197, v99, v73
	v_mul_f32_e32 v198, v98, v73
	s_waitcnt lgkmcnt(4)
	v_mul_f32_e32 v199, v101, v75
	v_mul_f32_e32 v200, v100, v75
	v_fma_f32 v82, v82, v76, -v193
	v_fmac_f32_e32 v194, v83, v76
	s_waitcnt vmcnt(3) lgkmcnt(3)
	v_mul_f32_e32 v201, v105, v69
	v_mul_f32_e32 v202, v104, v69
	;; [unrolled: 1-line block ×4, first 2 shown]
	s_waitcnt vmcnt(2) lgkmcnt(2)
	v_mul_f32_e32 v205, v186, v61
	v_mul_f32_e32 v206, v185, v61
	;; [unrolled: 1-line block ×4, first 2 shown]
	s_waitcnt vmcnt(1)
	v_mul_f32_e32 v209, v107, v65
	v_mul_f32_e32 v210, v106, v65
	;; [unrolled: 1-line block ×4, first 2 shown]
	s_waitcnt vmcnt(0)
	v_mul_f32_e32 v213, v188, v57
	v_mul_f32_e32 v214, v187, v57
	s_waitcnt lgkmcnt(0)
	v_mul_f32_e32 v215, v164, v59
	v_mul_f32_e32 v216, v163, v59
	v_fma_f32 v84, v84, v78, -v195
	v_fmac_f32_e32 v196, v85, v78
	v_fma_f32 v85, v98, v72, -v197
	v_fmac_f32_e32 v198, v99, v72
	;; [unrolled: 2-line block ×11, first 2 shown]
	v_sub_f32_e32 v97, v82, v84
	v_sub_f32_e32 v99, v193, v85
	v_add_f32_e32 v100, v82, v193
	v_sub_f32_e32 v101, v84, v82
	v_sub_f32_e32 v104, v85, v193
	v_add_f32_e32 v105, v196, v198
	v_add_f32_e32 v163, v194, v200
	;; [unrolled: 1-line block ×9, first 2 shown]
	v_sub_f32_e32 v106, v194, v196
	v_sub_f32_e32 v107, v200, v198
	v_add_f32_e32 v219, v80, v98
	v_add_f32_e32 v230, v81, v210
	;; [unrolled: 1-line block ×8, first 2 shown]
	v_sub_f32_e32 v164, v196, v194
	v_sub_f32_e32 v185, v198, v200
	;; [unrolled: 1-line block ×11, first 2 shown]
	v_add_f32_e32 v244, v97, v99
	v_add_f32_e32 v245, v101, v104
	v_fma_f32 v97, -0.5, v105, v190
	v_fma_f32 v98, -0.5, v100, v189
	;; [unrolled: 1-line block ×6, first 2 shown]
	v_fmac_f32_e32 v192, -0.5, v215
	v_add_f32_e32 v104, v235, v196
	v_add_f32_e32 v105, v207, v204
	v_sub_f32_e32 v211, v202, v204
	v_sub_f32_e32 v217, v204, v202
	;; [unrolled: 1-line block ×6, first 2 shown]
	v_fma_f32 v96, -0.5, v96, v189
	v_add_f32_e32 v246, v106, v107
	v_add_f32_e32 v106, v230, v212
	;; [unrolled: 1-line block ×3, first 2 shown]
	v_sub_f32_e32 v203, v86, v83
	v_sub_f32_e32 v227, v210, v212
	;; [unrolled: 1-line block ×4, first 2 shown]
	v_fma_f32 v82, -0.5, v220, v80
	v_fma_f32 v83, -0.5, v226, v81
	v_add_f32_e32 v84, v233, v84
	v_sub_f32_e32 v239, v212, v214
	v_sub_f32_e32 v240, v102, v103
	v_fma_f32 v80, -0.5, v223, v80
	v_fmac_f32_e32 v81, -0.5, v229
	v_add_f32_e32 v86, v186, v86
	v_sub_f32_e32 v205, v87, v195
	v_sub_f32_e32 v218, v206, v208
	v_add_f32_e32 v247, v164, v185
	v_add_f32_e32 v199, v188, v199
	;; [unrolled: 1-line block ×4, first 2 shown]
	v_fmamk_f32 v104, v236, 0xbf737871, v98
	v_fmamk_f32 v105, v234, 0x3f737871, v99
	;; [unrolled: 1-line block ×4, first 2 shown]
	v_sub_f32_e32 v213, v208, v206
	v_sub_f32_e32 v222, v197, v103
	;; [unrolled: 1-line block ×3, first 2 shown]
	v_fmamk_f32 v102, v194, 0x3f737871, v96
	v_fmac_f32_e32 v96, 0xbf737871, v194
	v_add_f32_e32 v189, v107, v103
	v_add_f32_e32 v190, v106, v214
	v_fmamk_f32 v103, v241, 0xbf737871, v97
	v_fmac_f32_e32 v97, 0x3f737871, v241
	v_fmamk_f32 v106, v202, 0x3f737871, v100
	v_fmac_f32_e32 v100, 0xbf737871, v202
	;; [unrolled: 2-line block ×3, first 2 shown]
	v_sub_f32_e32 v228, v216, v214
	v_add_f32_e32 v185, v84, v85
	v_fmac_f32_e32 v98, 0x3f737871, v236
	v_fmac_f32_e32 v99, 0xbf737871, v234
	v_fmamk_f32 v84, v210, 0x3f737871, v82
	v_fmamk_f32 v85, v243, 0xbf737871, v83
	v_sub_f32_e32 v232, v214, v216
	v_add_f32_e32 v187, v86, v87
	v_fmac_f32_e32 v191, 0x3f737871, v237
	v_fmac_f32_e32 v192, 0xbf737871, v238
	;; [unrolled: 1-line block ×3, first 2 shown]
	v_fmamk_f32 v86, v239, 0xbf737871, v80
	v_fmac_f32_e32 v80, 0x3f737871, v239
	v_fmac_f32_e32 v83, 0x3f737871, v243
	v_fmamk_f32 v87, v240, 0x3f737871, v81
	v_fmac_f32_e32 v81, 0xbf737871, v240
	v_add_f32_e32 v201, v203, v205
	v_add_f32_e32 v205, v217, v218
	v_fmac_f32_e32 v104, 0x3f167918, v194
	v_fmac_f32_e32 v105, 0xbf167918, v241
	;; [unrolled: 1-line block ×4, first 2 shown]
	v_add_f32_e32 v203, v211, v213
	v_fmac_f32_e32 v96, 0xbf167918, v236
	v_fmac_f32_e32 v97, 0x3f167918, v234
	;; [unrolled: 1-line block ×6, first 2 shown]
	v_add_f32_e32 v209, v221, v222
	v_add_f32_e32 v213, v227, v228
	v_fmac_f32_e32 v98, 0xbf167918, v194
	v_fmac_f32_e32 v99, 0x3f167918, v241
	v_fmac_f32_e32 v106, 0x3f167918, v237
	v_fmac_f32_e32 v107, 0xbf167918, v238
	v_fmac_f32_e32 v84, 0x3f167918, v239
	v_fmac_f32_e32 v85, 0xbf167918, v240
	v_add_f32_e32 v211, v224, v225
	v_add_f32_e32 v215, v231, v232
	;; [unrolled: 1-line block ×4, first 2 shown]
	v_fmac_f32_e32 v191, 0xbf167918, v202
	v_add_f32_e32 v187, v187, v195
	v_add_f32_e32 v188, v188, v208
	v_fmac_f32_e32 v192, 0x3f167918, v242
	v_fmac_f32_e32 v82, 0xbf167918, v239
	;; [unrolled: 1-line block ×15, first 2 shown]
	v_add_f32_e32 v189, v189, v197
	v_add_f32_e32 v190, v190, v216
	v_fmac_f32_e32 v102, 0x3e9e377a, v244
	v_fmac_f32_e32 v103, 0x3e9e377a, v246
	;; [unrolled: 1-line block ×16, first 2 shown]
	ds_write2_b64 v165, v[185:186], v[187:188] offset1:110
	ds_write2_b64 v91, v[104:105], v[163:164] offset0:20 offset1:130
	ds_write2_b64 v92, v[96:97], v[100:101] offset0:40 offset1:150
	;; [unrolled: 1-line block ×6, first 2 shown]
	ds_write_b64 v165, v[82:83] offset:12320
	s_waitcnt lgkmcnt(0)
	s_barrier
	buffer_gl0_inv
	s_clause 0x1
	global_load_dwordx2 v[97:98], v[161:162], off offset:912
	global_load_dwordx2 v[99:100], v[88:89], off offset:1200
	v_add_co_u32 v93, s1, 0x3800, v118
	v_add_co_ci_u32_e64 v94, s1, 0, v119, s1
	v_add_co_u32 v95, s1, 0x4000, v118
	v_add_co_ci_u32_e64 v96, s1, 0, v119, s1
	v_add_co_u32 v101, s1, 0x4800, v118
	v_add_co_ci_u32_e64 v102, s1, 0, v119, s1
	v_add_co_u32 v103, s1, 0x5000, v118
	v_add_co_ci_u32_e64 v104, s1, 0, v119, s1
	s_clause 0x1
	global_load_dwordx2 v[105:106], v[93:94], off offset:1264
	global_load_dwordx2 v[163:164], v[95:96], off offset:416
	v_add_co_u32 v93, s1, 0x5800, v118
	v_add_co_ci_u32_e64 v94, s1, 0, v119, s1
	s_clause 0x3
	global_load_dwordx2 v[193:194], v[95:96], off offset:1616
	global_load_dwordx2 v[195:196], v[101:102], off offset:768
	;; [unrolled: 1-line block ×4, first 2 shown]
	v_add_co_u32 v95, s1, 0x6000, v118
	v_add_co_ci_u32_e64 v96, s1, 0, v119, s1
	s_clause 0x2
	global_load_dwordx2 v[201:202], v[93:94], off offset:272
	global_load_dwordx2 v[203:204], v[93:94], off offset:1472
	;; [unrolled: 1-line block ×3, first 2 shown]
	ds_read2_b64 v[93:96], v165 offset1:150
	s_waitcnt vmcnt(10) lgkmcnt(0)
	v_mul_f32_e32 v102, v94, v98
	v_mul_f32_e32 v101, v93, v98
	s_waitcnt vmcnt(9)
	v_mul_f32_e32 v103, v96, v100
	v_mul_f32_e32 v98, v95, v100
	v_fma_f32 v100, v93, v97, -v102
	v_fmac_f32_e32 v101, v94, v97
	v_fma_f32 v97, v95, v99, -v103
	v_fmac_f32_e32 v98, v96, v99
	v_add_nc_u32_e32 v93, 0x800, v165
	v_add_nc_u32_e32 v94, 0x1000, v165
	;; [unrolled: 1-line block ×3, first 2 shown]
	ds_write2_b64 v165, v[100:101], v[97:98] offset1:150
	ds_read2_b64 v[96:99], v93 offset0:44 offset1:194
	v_add_nc_u32_e32 v100, 0x2400, v165
	ds_read2_b64 v[101:104], v94 offset0:88 offset1:238
	ds_read2_b64 v[185:188], v95 offset0:4 offset1:154
	;; [unrolled: 1-line block ×3, first 2 shown]
	ds_read_b64 v[207:208], v165 offset:12000
	s_waitcnt vmcnt(8) lgkmcnt(4)
	v_mul_f32_e32 v209, v97, v106
	v_mul_f32_e32 v107, v96, v106
	s_waitcnt vmcnt(7)
	v_mul_f32_e32 v211, v99, v164
	v_mul_f32_e32 v210, v98, v164
	s_waitcnt vmcnt(6) lgkmcnt(3)
	v_mul_f32_e32 v212, v102, v194
	v_mul_f32_e32 v164, v101, v194
	s_waitcnt vmcnt(5)
	v_mul_f32_e32 v213, v104, v196
	v_mul_f32_e32 v194, v103, v196
	s_waitcnt vmcnt(4) lgkmcnt(2)
	v_mul_f32_e32 v214, v186, v198
	v_mul_f32_e32 v196, v185, v198
	s_waitcnt vmcnt(3)
	v_mul_f32_e32 v215, v188, v200
	v_mul_f32_e32 v198, v187, v200
	s_waitcnt vmcnt(2) lgkmcnt(1)
	v_mul_f32_e32 v216, v190, v202
	v_mul_f32_e32 v200, v189, v202
	s_waitcnt vmcnt(1)
	v_mul_f32_e32 v217, v192, v204
	v_mul_f32_e32 v202, v191, v204
	s_waitcnt vmcnt(0) lgkmcnt(0)
	v_mul_f32_e32 v218, v208, v206
	v_mul_f32_e32 v204, v207, v206
	v_fma_f32 v106, v96, v105, -v209
	v_fmac_f32_e32 v107, v97, v105
	v_fma_f32 v209, v98, v163, -v211
	v_fmac_f32_e32 v210, v99, v163
	;; [unrolled: 2-line block ×9, first 2 shown]
	ds_write2_b64 v93, v[106:107], v[209:210] offset0:44 offset1:194
	ds_write2_b64 v94, v[163:164], v[193:194] offset0:88 offset1:238
	;; [unrolled: 1-line block ×4, first 2 shown]
	ds_write_b64 v165, v[203:204] offset:12000
	s_and_saveexec_b32 s4, vcc_lo
	s_cbranch_execz .LBB0_13
; %bb.12:
	v_add_co_u32 v96, s1, 0x800, v88
	v_add_co_ci_u32_e64 v97, s1, 0, v89, s1
	v_add_co_u32 v98, s1, 0x1000, v88
	s_clause 0x1
	global_load_dwordx2 v[101:102], v[88:89], off offset:880
	global_load_dwordx2 v[103:104], v[96:97], off offset:32
	v_add_co_ci_u32_e64 v99, s1, 0, v89, s1
	v_add_co_u32 v105, s1, 0x1800, v88
	v_add_co_ci_u32_e64 v106, s1, 0, v89, s1
	v_add_co_u32 v163, s1, 0x2000, v88
	v_add_co_ci_u32_e64 v164, s1, 0, v89, s1
	s_clause 0x1
	global_load_dwordx2 v[193:194], v[96:97], off offset:1232
	global_load_dwordx2 v[195:196], v[98:99], off offset:384
	v_add_co_u32 v96, s1, 0x2800, v88
	v_add_co_ci_u32_e64 v97, s1, 0, v89, s1
	v_add_co_u32 v88, s1, 0x3000, v88
	v_add_co_ci_u32_e64 v89, s1, 0, v89, s1
	s_clause 0x6
	global_load_dwordx2 v[197:198], v[98:99], off offset:1584
	global_load_dwordx2 v[199:200], v[105:106], off offset:736
	;; [unrolled: 1-line block ×7, first 2 shown]
	v_add_nc_u32_e32 v107, 0x200, v165
	v_add_nc_u32_e32 v209, 0x1e00, v165
	ds_read2_b64 v[96:99], v107 offset0:46 offset1:196
	s_waitcnt vmcnt(10) lgkmcnt(0)
	v_mul_f32_e32 v185, v97, v102
	v_mul_f32_e32 v186, v96, v102
	s_waitcnt vmcnt(9)
	v_mul_f32_e32 v187, v99, v104
	v_mul_f32_e32 v102, v98, v104
	v_fma_f32 v185, v96, v101, -v185
	v_fmac_f32_e32 v186, v97, v101
	v_fma_f32 v101, v98, v103, -v187
	v_fmac_f32_e32 v102, v99, v103
	ds_write2_b64 v107, v[185:186], v[101:102] offset0:46 offset1:196
	ds_read2_b64 v[96:99], v90 offset0:26 offset1:176
	ds_read2_b64 v[101:104], v91 offset0:70 offset1:220
	;; [unrolled: 1-line block ×4, first 2 shown]
	ds_read_b64 v[205:206], v165 offset:12880
	s_waitcnt vmcnt(6) lgkmcnt(3)
	v_mul_f32_e32 v211, v102, v198
	s_waitcnt vmcnt(5)
	v_mul_f32_e32 v212, v104, v200
	v_mul_f32_e32 v207, v97, v194
	;; [unrolled: 1-line block ×7, first 2 shown]
	s_waitcnt vmcnt(4) lgkmcnt(2)
	v_mul_f32_e32 v213, v186, v106
	v_mul_f32_e32 v200, v185, v106
	s_waitcnt vmcnt(3)
	v_mul_f32_e32 v214, v188, v164
	v_mul_f32_e32 v208, v187, v164
	s_waitcnt vmcnt(2) lgkmcnt(1)
	v_mul_f32_e32 v215, v190, v202
	v_mul_f32_e32 v164, v189, v202
	s_waitcnt vmcnt(1)
	v_mul_f32_e32 v216, v192, v204
	v_mul_f32_e32 v202, v191, v204
	s_waitcnt vmcnt(0) lgkmcnt(0)
	v_mul_f32_e32 v217, v206, v89
	v_mul_f32_e32 v204, v205, v89
	v_fma_f32 v106, v96, v193, -v207
	v_fmac_f32_e32 v107, v97, v193
	v_fma_f32 v193, v98, v195, -v210
	v_fmac_f32_e32 v194, v99, v195
	;; [unrolled: 2-line block ×9, first 2 shown]
	ds_write2_b64 v90, v[106:107], v[193:194] offset0:26 offset1:176
	ds_write2_b64 v91, v[195:196], v[197:198] offset0:70 offset1:220
	ds_write2_b64 v209, v[199:200], v[207:208] offset0:50 offset1:200
	ds_write2_b64 v92, v[163:164], v[201:202] offset0:30 offset1:180
	ds_write_b64 v165, v[203:204] offset:12880
.LBB0_13:
	s_or_b32 exec_lo, exec_lo, s4
	s_waitcnt lgkmcnt(0)
	s_barrier
	buffer_gl0_inv
	ds_read2_b64 v[104:107], v165 offset1:150
	ds_read2_b64 v[96:99], v93 offset0:44 offset1:194
	ds_read2_b64 v[88:91], v94 offset0:88 offset1:238
	;; [unrolled: 1-line block ×4, first 2 shown]
	ds_read_b64 v[163:164], v165 offset:12000
	s_and_saveexec_b32 s1, vcc_lo
	s_cbranch_execz .LBB0_15
; %bb.14:
	v_add_nc_u32_e32 v0, 0x200, v165
	v_add_nc_u32_e32 v1, 0xc00, v165
	;; [unrolled: 1-line block ×5, first 2 shown]
	ds_read2_b64 v[84:87], v0 offset0:46 offset1:196
	ds_read2_b64 v[80:83], v1 offset0:26 offset1:176
	;; [unrolled: 1-line block ×5, first 2 shown]
	ds_read_b64 v[143:144], v165 offset:12880
.LBB0_15:
	s_or_b32 exec_lo, exec_lo, s1
	s_waitcnt lgkmcnt(5)
	v_add_f32_e32 v185, v104, v106
	v_add_f32_e32 v186, v105, v107
	s_waitcnt lgkmcnt(0)
	v_sub_f32_e32 v188, v107, v164
	v_add_f32_e32 v189, v164, v107
	v_add_f32_e32 v187, v163, v106
	;; [unrolled: 1-line block ×4, first 2 shown]
	v_sub_f32_e32 v190, v106, v163
	v_mul_f32_e32 v106, 0xbf0a6770, v188
	v_mul_f32_e32 v191, 0xbf68dda4, v188
	v_add_f32_e32 v107, v185, v98
	v_add_f32_e32 v185, v186, v99
	v_mul_f32_e32 v192, 0x3ed4b147, v189
	v_mul_f32_e32 v193, 0xbf7d64f0, v188
	v_fmamk_f32 v195, v187, 0x3f575c64, v106
	v_add_f32_e32 v107, v107, v88
	v_add_f32_e32 v185, v185, v89
	v_fma_f32 v106, 0x3f575c64, v187, -v106
	v_fmamk_f32 v197, v187, 0x3ed4b147, v191
	v_fmamk_f32 v198, v190, 0x3f68dda4, v192
	v_add_f32_e32 v107, v107, v90
	v_add_f32_e32 v185, v185, v91
	v_fmamk_f32 v199, v187, 0xbe11bafb, v193
	v_add_f32_e32 v200, v104, v106
	v_mul_f32_e32 v186, 0x3f575c64, v189
	v_add_f32_e32 v107, v107, v92
	v_add_f32_e32 v185, v185, v93
	v_mul_f32_e32 v194, 0xbe11bafb, v189
	v_fmac_f32_e32 v192, 0xbf68dda4, v190
	v_sub_f32_e32 v204, v97, v103
	v_add_f32_e32 v107, v107, v94
	v_add_f32_e32 v185, v185, v95
	;; [unrolled: 1-line block ×3, first 2 shown]
	v_fmamk_f32 v196, v190, 0x3f0a6770, v186
	v_fmac_f32_e32 v186, 0xbf0a6770, v190
	v_add_f32_e32 v107, v107, v100
	v_add_f32_e32 v185, v185, v101
	v_fma_f32 v191, 0x3ed4b147, v187, -v191
	v_fma_f32 v193, 0xbe11bafb, v187, -v193
	v_add_f32_e32 v206, v102, v96
	v_add_f32_e32 v106, v107, v102
	;; [unrolled: 1-line block ×5, first 2 shown]
	v_mul_f32_e32 v198, 0xbf4178ce, v188
	v_mul_f32_e32 v188, 0xbe903f40, v188
	v_add_f32_e32 v107, v107, v164
	v_add_f32_e32 v164, v104, v199
	v_mul_f32_e32 v199, 0xbf27a4f4, v189
	v_mul_f32_e32 v189, 0xbf75a155, v189
	v_add_f32_e32 v106, v106, v163
	v_add_f32_e32 v163, v105, v192
	v_fmamk_f32 v192, v190, 0x3f7d64f0, v194
	v_fmac_f32_e32 v194, 0xbf7d64f0, v190
	v_fmamk_f32 v201, v187, 0xbf27a4f4, v198
	v_fmamk_f32 v202, v190, 0x3f4178ce, v199
	v_fma_f32 v198, 0xbf27a4f4, v187, -v198
	v_fmac_f32_e32 v199, 0xbf4178ce, v190
	v_fmamk_f32 v203, v187, 0xbf75a155, v188
	v_fmamk_f32 v205, v190, 0x3e903f40, v189
	v_mul_f32_e32 v207, 0xbf68dda4, v204
	v_fma_f32 v103, 0xbf75a155, v187, -v188
	v_fmac_f32_e32 v189, 0xbe903f40, v190
	v_sub_f32_e32 v96, v96, v102
	v_mul_f32_e32 v187, 0x3ed4b147, v97
	v_add_f32_e32 v195, v104, v195
	v_add_f32_e32 v196, v105, v196
	;; [unrolled: 1-line block ×12, first 2 shown]
	v_fmamk_f32 v102, v206, 0x3ed4b147, v207
	v_add_f32_e32 v188, v105, v205
	v_add_f32_e32 v103, v104, v103
	v_add_f32_e32 v104, v105, v189
	v_fmamk_f32 v105, v96, 0x3f68dda4, v187
	v_mul_f32_e32 v189, 0xbf4178ce, v204
	v_fma_f32 v190, 0x3ed4b147, v206, -v207
	v_add_f32_e32 v102, v102, v195
	v_fmac_f32_e32 v187, 0xbf68dda4, v96
	v_mul_f32_e32 v195, 0xbf27a4f4, v97
	v_add_f32_e32 v105, v105, v196
	v_fmamk_f32 v196, v206, 0xbf27a4f4, v189
	v_add_f32_e32 v190, v190, v200
	v_mul_f32_e32 v200, 0x3e903f40, v204
	v_add_f32_e32 v186, v187, v186
	v_fmamk_f32 v187, v96, 0x3f4178ce, v195
	v_add_f32_e32 v185, v196, v185
	v_fma_f32 v189, 0xbf27a4f4, v206, -v189
	v_fmamk_f32 v196, v206, 0xbf75a155, v200
	v_fmac_f32_e32 v195, 0xbf4178ce, v96
	v_add_f32_e32 v187, v187, v197
	v_mul_f32_e32 v197, 0xbf75a155, v97
	v_add_f32_e32 v189, v189, v191
	v_mul_f32_e32 v191, 0x3f7d64f0, v204
	v_add_f32_e32 v164, v196, v164
	v_fma_f32 v196, 0xbf75a155, v206, -v200
	v_mul_f32_e32 v205, 0xbe11bafb, v97
	v_add_f32_e32 v163, v195, v163
	v_fmamk_f32 v195, v96, 0xbe903f40, v197
	v_fmac_f32_e32 v197, 0x3e903f40, v96
	v_fmamk_f32 v200, v206, 0xbe11bafb, v191
	v_add_f32_e32 v193, v196, v193
	v_fmamk_f32 v196, v96, 0xbf7d64f0, v205
	v_mul_f32_e32 v97, 0x3f575c64, v97
	v_fma_f32 v191, 0xbe11bafb, v206, -v191
	v_fmac_f32_e32 v205, 0x3f7d64f0, v96
	v_add_f32_e32 v192, v195, v192
	v_add_f32_e32 v194, v197, v194
	v_add_f32_e32 v195, v200, v201
	v_mul_f32_e32 v197, 0x3f0a6770, v204
	v_fmamk_f32 v201, v96, 0xbf0a6770, v97
	v_add_f32_e32 v191, v191, v198
	v_add_f32_e32 v198, v205, v199
	v_sub_f32_e32 v199, v99, v101
	v_add_f32_e32 v99, v101, v99
	v_fmamk_f32 v200, v206, 0x3f575c64, v197
	v_add_f32_e32 v188, v201, v188
	v_add_f32_e32 v201, v100, v98
	v_fma_f32 v197, 0x3f575c64, v206, -v197
	v_fmac_f32_e32 v97, 0x3f0a6770, v96
	v_sub_f32_e32 v96, v98, v100
	v_mul_f32_e32 v98, 0xbe11bafb, v99
	v_mul_f32_e32 v101, 0xbf7d64f0, v199
	v_add_f32_e32 v103, v197, v103
	v_add_f32_e32 v97, v97, v104
	v_mul_f32_e32 v104, 0x3e903f40, v199
	v_fmamk_f32 v197, v96, 0x3f7d64f0, v98
	v_fmamk_f32 v100, v201, 0xbe11bafb, v101
	v_fma_f32 v101, 0xbe11bafb, v201, -v101
	v_fmac_f32_e32 v98, 0xbf7d64f0, v96
	v_add_f32_e32 v196, v196, v202
	v_add_f32_e32 v105, v197, v105
	v_mul_f32_e32 v197, 0xbf75a155, v99
	v_add_f32_e32 v100, v100, v102
	v_fmamk_f32 v102, v201, 0xbf75a155, v104
	v_add_f32_e32 v101, v101, v190
	v_add_f32_e32 v98, v98, v186
	v_fmamk_f32 v186, v96, 0xbe903f40, v197
	v_mul_f32_e32 v190, 0x3ed4b147, v99
	v_add_f32_e32 v102, v102, v185
	v_mul_f32_e32 v185, 0x3f68dda4, v199
	v_fma_f32 v104, 0xbf75a155, v201, -v104
	v_add_f32_e32 v186, v186, v187
	v_fmamk_f32 v187, v96, 0xbf68dda4, v190
	v_fmac_f32_e32 v197, 0x3e903f40, v96
	v_fmamk_f32 v202, v201, 0x3ed4b147, v185
	v_add_f32_e32 v104, v104, v189
	v_mul_f32_e32 v189, 0xbf0a6770, v199
	v_fma_f32 v185, 0x3ed4b147, v201, -v185
	v_fmac_f32_e32 v190, 0x3f68dda4, v96
	v_add_f32_e32 v187, v187, v192
	v_mul_f32_e32 v192, 0x3f575c64, v99
	v_add_f32_e32 v163, v197, v163
	v_fmamk_f32 v197, v201, 0x3f575c64, v189
	v_add_f32_e32 v185, v185, v193
	v_add_f32_e32 v190, v190, v194
	v_mul_f32_e32 v193, 0xbf4178ce, v199
	v_fmamk_f32 v194, v96, 0x3f0a6770, v192
	v_add_f32_e32 v200, v200, v203
	v_add_f32_e32 v195, v197, v195
	v_fma_f32 v189, 0x3f575c64, v201, -v189
	v_fmac_f32_e32 v192, 0xbf0a6770, v96
	v_fmamk_f32 v197, v201, 0xbf27a4f4, v193
	v_add_f32_e32 v194, v194, v196
	v_mul_f32_e32 v99, 0xbf27a4f4, v99
	v_sub_f32_e32 v196, v89, v95
	v_add_f32_e32 v89, v95, v89
	v_add_f32_e32 v189, v189, v191
	;; [unrolled: 1-line block ×4, first 2 shown]
	v_fmamk_f32 v197, v96, 0x3f4178ce, v99
	v_fma_f32 v193, 0xbf27a4f4, v201, -v193
	v_add_f32_e32 v95, v94, v88
	v_mul_f32_e32 v198, 0xbf4178ce, v196
	v_fmac_f32_e32 v99, 0xbf4178ce, v96
	v_sub_f32_e32 v88, v88, v94
	v_mul_f32_e32 v94, 0xbf27a4f4, v89
	v_add_f32_e32 v96, v197, v188
	v_fmamk_f32 v188, v95, 0xbf27a4f4, v198
	v_add_f32_e32 v103, v193, v103
	v_add_f32_e32 v97, v99, v97
	v_fmamk_f32 v99, v88, 0x3f4178ce, v94
	v_mul_f32_e32 v193, 0x3f7d64f0, v196
	v_fmac_f32_e32 v94, 0xbf4178ce, v88
	v_add_f32_e32 v100, v188, v100
	v_fma_f32 v188, 0xbf27a4f4, v95, -v198
	v_add_f32_e32 v99, v99, v105
	v_fmamk_f32 v105, v95, 0xbe11bafb, v193
	v_mul_f32_e32 v197, 0xbe11bafb, v89
	v_add_f32_e32 v94, v94, v98
	v_mul_f32_e32 v98, 0xbf0a6770, v196
	v_add_f32_e32 v164, v202, v164
	v_add_f32_e32 v101, v188, v101
	;; [unrolled: 1-line block ×3, first 2 shown]
	v_fmamk_f32 v105, v88, 0xbf7d64f0, v197
	v_fma_f32 v188, 0xbe11bafb, v95, -v193
	v_fmamk_f32 v193, v95, 0x3f575c64, v98
	v_mul_f32_e32 v198, 0x3f575c64, v89
	v_fma_f32 v98, 0x3f575c64, v95, -v98
	v_add_f32_e32 v105, v105, v186
	v_add_f32_e32 v104, v188, v104
	;; [unrolled: 1-line block ×3, first 2 shown]
	v_fmamk_f32 v186, v88, 0x3f0a6770, v198
	v_mul_f32_e32 v188, 0xbe903f40, v196
	v_fmac_f32_e32 v198, 0xbf0a6770, v88
	v_mul_f32_e32 v193, 0xbf75a155, v89
	v_add_f32_e32 v98, v98, v185
	v_add_f32_e32 v186, v186, v187
	v_fmamk_f32 v187, v95, 0xbf75a155, v188
	v_add_f32_e32 v185, v198, v190
	v_fmamk_f32 v190, v88, 0x3e903f40, v193
	v_mul_f32_e32 v196, 0x3f68dda4, v196
	v_fma_f32 v188, 0xbf75a155, v95, -v188
	v_fmac_f32_e32 v193, 0xbe903f40, v88
	v_mul_f32_e32 v89, 0x3ed4b147, v89
	v_add_f32_e32 v190, v190, v194
	v_fmamk_f32 v194, v95, 0x3ed4b147, v196
	v_add_f32_e32 v188, v188, v189
	v_add_f32_e32 v189, v193, v191
	v_sub_f32_e32 v191, v91, v93
	v_add_f32_e32 v91, v93, v91
	v_fmac_f32_e32 v197, 0x3f7d64f0, v88
	v_add_f32_e32 v192, v194, v192
	v_fmamk_f32 v193, v88, 0xbf68dda4, v89
	v_add_f32_e32 v194, v92, v90
	v_fmac_f32_e32 v89, 0x3f68dda4, v88
	v_sub_f32_e32 v90, v90, v92
	v_mul_f32_e32 v88, 0xbf75a155, v91
	v_mul_f32_e32 v93, 0xbe903f40, v191
	v_add_f32_e32 v163, v197, v163
	v_add_f32_e32 v97, v89, v97
	;; [unrolled: 1-line block ×3, first 2 shown]
	v_fmamk_f32 v89, v90, 0x3e903f40, v88
	v_fmamk_f32 v92, v194, 0xbf75a155, v93
	v_fma_f32 v93, 0xbf75a155, v194, -v93
	v_fmac_f32_e32 v88, 0xbe903f40, v90
	v_sub_f32_e32 v195, v87, v144
	v_add_f32_e32 v210, v89, v99
	v_mul_f32_e32 v89, 0x3f575c64, v91
	v_add_f32_e32 v209, v92, v100
	v_mul_f32_e32 v92, 0x3f0a6770, v191
	v_add_f32_e32 v211, v93, v101
	v_add_f32_e32 v212, v88, v94
	v_mul_f32_e32 v88, 0xbf4178ce, v191
	v_fmamk_f32 v93, v90, 0xbf0a6770, v89
	v_fmamk_f32 v99, v194, 0x3f575c64, v92
	v_fma_f32 v92, 0x3f575c64, v194, -v92
	v_fmac_f32_e32 v89, 0x3f0a6770, v90
	v_fmamk_f32 v94, v194, 0xbf27a4f4, v88
	v_add_f32_e32 v214, v93, v105
	v_mul_f32_e32 v93, 0xbf27a4f4, v91
	v_add_f32_e32 v215, v92, v104
	v_add_f32_e32 v216, v89, v163
	;; [unrolled: 1-line block ×3, first 2 shown]
	v_mul_f32_e32 v94, 0x3ed4b147, v91
	v_fmamk_f32 v92, v90, 0x3f4178ce, v93
	v_mul_f32_e32 v89, 0x3f68dda4, v191
	v_fma_f32 v88, 0xbf27a4f4, v194, -v88
	v_fma_f32 v95, 0x3ed4b147, v95, -v196
	v_add_f32_e32 v96, v193, v96
	v_add_f32_e32 v218, v92, v186
	v_fmamk_f32 v92, v90, 0xbf68dda4, v94
	v_add_f32_e32 v219, v88, v98
	v_fma_f32 v88, 0x3ed4b147, v194, -v89
	v_mul_f32_e32 v98, 0xbe11bafb, v91
	v_add_f32_e32 v213, v99, v102
	v_add_f32_e32 v222, v92, v190
	v_mul_f32_e32 v92, 0xbf7d64f0, v191
	v_fmamk_f32 v99, v194, 0x3ed4b147, v89
	v_add_f32_e32 v223, v88, v188
	v_fmamk_f32 v91, v90, 0x3f7d64f0, v98
	v_add_f32_e32 v88, v143, v86
	v_fmamk_f32 v89, v194, 0xbe11bafb, v92
	v_mul_f32_e32 v100, 0xbf7d64f0, v195
	v_add_f32_e32 v95, v95, v103
	v_fma_f32 v92, 0xbe11bafb, v194, -v92
	v_add_f32_e32 v226, v91, v96
	v_add_f32_e32 v225, v89, v192
	v_sub_f32_e32 v89, v86, v143
	v_fmamk_f32 v91, v88, 0xbe11bafb, v100
	v_fmac_f32_e32 v93, 0xbf4178ce, v90
	v_fmac_f32_e32 v94, 0x3f68dda4, v90
	v_add_f32_e32 v203, v144, v87
	v_mul_f32_e32 v103, 0xbf7d64f0, v89
	v_add_f32_e32 v227, v92, v95
	v_add_f32_e32 v92, v84, v91
	v_sub_f32_e32 v199, v81, v3
	v_sub_f32_e32 v91, v80, v2
	v_add_f32_e32 v220, v93, v185
	v_add_f32_e32 v224, v94, v189
	v_fmac_f32_e32 v98, 0xbf7d64f0, v90
	v_fma_f32 v93, 0xbe11bafb, v203, -v103
	v_mul_f32_e32 v186, 0xbf4178ce, v195
	v_mul_f32_e32 v189, 0xbf4178ce, v89
	v_add_f32_e32 v90, v2, v80
	v_mul_f32_e32 v104, 0x3e903f40, v199
	v_add_f32_e32 v205, v3, v81
	;; [unrolled: 2-line block ×3, first 2 shown]
	v_fmamk_f32 v94, v88, 0xbf27a4f4, v186
	v_fma_f32 v95, 0xbf27a4f4, v203, -v189
	v_fmamk_f32 v96, v90, 0xbf75a155, v104
	v_add_f32_e32 v99, v85, v93
	v_fma_f32 v101, 0xbf75a155, v205, -v105
	v_mul_f32_e32 v188, 0x3f7d64f0, v199
	v_sub_f32_e32 v201, v83, v1
	v_sub_f32_e32 v93, v82, v0
	v_mul_f32_e32 v193, 0x3f7d64f0, v91
	v_add_f32_e32 v94, v84, v94
	v_add_f32_e32 v95, v85, v95
	;; [unrolled: 1-line block ×5, first 2 shown]
	v_mul_f32_e32 v163, 0x3f68dda4, v201
	v_mul_f32_e32 v164, 0x3f68dda4, v93
	v_fmamk_f32 v102, v90, 0xbe11bafb, v188
	v_add_f32_e32 v99, v101, v99
	v_fma_f32 v101, 0xbe11bafb, v205, -v193
	v_mul_f32_e32 v192, 0xbf0a6770, v201
	v_sub_f32_e32 v202, v9, v7
	v_fmamk_f32 v185, v92, 0x3ed4b147, v163
	v_fma_f32 v187, 0x3ed4b147, v206, -v164
	v_add_f32_e32 v102, v102, v94
	v_add_f32_e32 v101, v101, v95
	v_fmamk_f32 v190, v92, 0x3f575c64, v192
	v_sub_f32_e32 v95, v8, v6
	v_add_f32_e32 v94, v6, v8
	v_mul_f32_e32 v194, 0xbe903f40, v202
	v_add_f32_e32 v96, v185, v96
	v_add_f32_e32 v99, v187, v99
	v_mul_f32_e32 v196, 0xbf0a6770, v93
	v_mul_f32_e32 v185, 0xbf0a6770, v202
	v_add_f32_e32 v208, v7, v9
	v_mul_f32_e32 v187, 0xbf0a6770, v95
	v_add_f32_e32 v102, v190, v102
	v_fmamk_f32 v200, v94, 0xbf75a155, v194
	v_fma_f32 v191, 0x3f575c64, v206, -v196
	v_fmamk_f32 v197, v94, 0x3f575c64, v185
	v_fma_f32 v190, 0x3f575c64, v208, -v187
	v_mul_f32_e32 v198, 0xbe903f40, v95
	v_add_f32_e32 v229, v200, v102
	v_sub_f32_e32 v204, v11, v5
	v_sub_f32_e32 v102, v10, v4
	v_add_f32_e32 v228, v191, v101
	v_add_f32_e32 v96, v197, v96
	;; [unrolled: 1-line block ×3, first 2 shown]
	v_fma_f32 v230, 0xbf75a155, v208, -v198
	v_add_f32_e32 v101, v4, v10
	v_add_f32_e32 v207, v5, v11
	v_mul_f32_e32 v190, 0xbf4178ce, v204
	v_mul_f32_e32 v191, 0xbf4178ce, v102
	;; [unrolled: 1-line block ×4, first 2 shown]
	v_add_f32_e32 v230, v230, v228
	v_fmamk_f32 v231, v101, 0xbf27a4f4, v190
	v_fma_f32 v232, 0xbf27a4f4, v207, -v191
	v_fmamk_f32 v233, v101, 0x3ed4b147, v197
	v_fma_f32 v234, 0x3ed4b147, v207, -v200
	v_add_f32_e32 v228, v98, v97
	v_add_f32_e32 v96, v231, v96
	;; [unrolled: 1-line block ×5, first 2 shown]
	s_barrier
	buffer_gl0_inv
	ds_write2_b64 v176, v[106:107], v[209:210] offset1:1
	ds_write2_b64 v176, v[213:214], v[217:218] offset0:2 offset1:3
	ds_write2_b64 v176, v[221:222], v[225:226] offset0:4 offset1:5
	ds_write2_b64 v176, v[227:228], v[223:224] offset0:6 offset1:7
	ds_write2_b64 v176, v[219:220], v[215:216] offset0:8 offset1:9
	ds_write_b64 v176, v[211:212] offset:80
	s_and_saveexec_b32 s1, vcc_lo
	s_cbranch_execz .LBB0_17
; %bb.16:
	v_mul_f32_e32 v220, 0xbf75a155, v203
	v_mul_f32_e32 v225, 0x3f575c64, v205
	;; [unrolled: 1-line block ×5, first 2 shown]
	v_fmamk_f32 v106, v89, 0x3e903f40, v220
	v_fmamk_f32 v107, v91, 0xbf0a6770, v225
	;; [unrolled: 1-line block ×3, first 2 shown]
	v_mul_f32_e32 v233, 0x3ed4b147, v208
	v_fmamk_f32 v234, v90, 0x3f575c64, v232
	v_add_f32_e32 v106, v85, v106
	v_mul_f32_e32 v235, 0xbf4178ce, v201
	v_add_f32_e32 v231, v84, v231
	v_mul_f32_e32 v236, 0xbe11bafb, v207
	v_mul_f32_e32 v237, 0x3f68dda4, v202
	v_add_f32_e32 v106, v107, v106
	v_fmamk_f32 v107, v93, 0x3f4178ce, v229
	v_add_f32_e32 v231, v234, v231
	v_fmamk_f32 v234, v92, 0xbf27a4f4, v235
	v_add_f32_e32 v86, v86, v84
	v_mul_f32_e32 v238, 0x3ed4b147, v203
	v_add_f32_e32 v106, v107, v106
	v_fmamk_f32 v107, v95, 0xbf68dda4, v233
	v_add_f32_e32 v231, v234, v231
	v_fmamk_f32 v234, v94, 0x3ed4b147, v237
	v_add_f32_e32 v87, v87, v85
	v_add_f32_e32 v80, v80, v86
	;; [unrolled: 1-line block ×3, first 2 shown]
	v_fmamk_f32 v107, v102, 0x3f7d64f0, v236
	v_fmamk_f32 v240, v89, 0x3f68dda4, v238
	v_mul_f32_e32 v241, 0xbf27a4f4, v205
	v_add_f32_e32 v81, v81, v87
	v_add_f32_e32 v80, v82, v80
	;; [unrolled: 1-line block ×4, first 2 shown]
	v_mul_f32_e32 v231, 0xbf68dda4, v195
	v_add_f32_e32 v234, v85, v240
	v_fmamk_f32 v240, v91, 0x3f4178ce, v241
	v_mul_f32_e32 v242, 0xbf75a155, v206
	v_mul_f32_e32 v245, 0xbf4178ce, v199
	v_fmamk_f32 v244, v88, 0x3ed4b147, v231
	v_add_f32_e32 v81, v83, v81
	v_add_f32_e32 v8, v8, v80
	;; [unrolled: 1-line block ×3, first 2 shown]
	v_fmamk_f32 v240, v93, 0xbe903f40, v242
	v_mul_f32_e32 v246, 0xbe11bafb, v208
	v_add_f32_e32 v244, v84, v244
	v_fmamk_f32 v247, v90, 0xbf27a4f4, v245
	v_mul_f32_e32 v248, 0x3e903f40, v201
	v_mul_f32_e32 v195, 0xbf0a6770, v195
	v_add_f32_e32 v9, v9, v81
	v_add_f32_e32 v8, v10, v8
	v_mul_f32_e32 v209, 0xbe11bafb, v203
	v_mul_f32_e32 v211, 0xbf27a4f4, v203
	v_add_f32_e32 v234, v240, v234
	v_fmamk_f32 v240, v95, 0xbf7d64f0, v246
	v_add_f32_e32 v244, v247, v244
	v_fmamk_f32 v247, v92, 0xbf75a155, v248
	v_mul_f32_e32 v250, 0x3f7d64f0, v202
	v_mul_f32_e32 v203, 0x3f575c64, v203
	v_fmamk_f32 v86, v88, 0x3f575c64, v195
	v_mul_f32_e32 v87, 0xbf68dda4, v199
	v_add_f32_e32 v9, v11, v9
	v_add_f32_e32 v4, v4, v8
	v_fmac_f32_e32 v220, 0xbe903f40, v89
	v_add_f32_e32 v234, v240, v234
	v_mul_f32_e32 v240, 0x3f575c64, v207
	v_add_f32_e32 v244, v247, v244
	v_fmamk_f32 v247, v94, 0xbe11bafb, v250
	v_mul_f32_e32 v251, 0x3f0a6770, v204
	v_fmamk_f32 v252, v89, 0x3f0a6770, v203
	v_mul_f32_e32 v253, 0x3ed4b147, v205
	v_add_f32_e32 v82, v84, v86
	v_fmamk_f32 v83, v90, 0x3ed4b147, v87
	v_mul_f32_e32 v86, 0xbf7d64f0, v201
	v_add_f32_e32 v5, v5, v9
	v_add_f32_e32 v4, v6, v4
	;; [unrolled: 1-line block ×3, first 2 shown]
	v_fmac_f32_e32 v225, 0x3f0a6770, v91
	v_mul_f32_e32 v213, 0xbf75a155, v205
	v_mul_f32_e32 v215, 0xbe11bafb, v205
	v_fmamk_f32 v205, v102, 0xbf0a6770, v240
	v_add_f32_e32 v244, v247, v244
	v_fmamk_f32 v247, v101, 0x3f575c64, v251
	v_add_f32_e32 v252, v85, v252
	v_fmamk_f32 v254, v91, 0x3f68dda4, v253
	v_mul_f32_e32 v255, 0xbe11bafb, v206
	v_add_f32_e32 v81, v83, v82
	v_fmamk_f32 v82, v92, 0xbe11bafb, v86
	v_mul_f32_e32 v11, 0xbf4178ce, v202
	v_add_f32_e32 v5, v7, v5
	v_add_f32_e32 v4, v0, v4
	;; [unrolled: 1-line block ×3, first 2 shown]
	v_fmac_f32_e32 v229, 0xbf4178ce, v93
	v_mul_f32_e32 v217, 0x3ed4b147, v206
	v_mul_f32_e32 v219, 0x3f575c64, v206
	v_mul_f32_e32 v222, 0x3f575c64, v208
	v_mul_f32_e32 v224, 0xbf75a155, v208
	v_add_f32_e32 v206, v205, v234
	v_add_f32_e32 v205, v247, v244
	;; [unrolled: 1-line block ×3, first 2 shown]
	v_fmamk_f32 v244, v93, 0x3f7d64f0, v255
	v_mul_f32_e32 v208, 0xbf27a4f4, v208
	v_add_f32_e32 v81, v82, v81
	v_fmamk_f32 v8, v94, 0xbf27a4f4, v11
	v_mul_f32_e32 v82, 0xbe903f40, v204
	v_add_f32_e32 v5, v1, v5
	v_add_f32_e32 v2, v2, v4
	;; [unrolled: 1-line block ×3, first 2 shown]
	v_fmac_f32_e32 v233, 0x3f68dda4, v95
	v_mul_f32_e32 v210, 0xbf27a4f4, v88
	v_add_f32_e32 v234, v244, v234
	v_fmamk_f32 v244, v95, 0x3f4178ce, v208
	v_mul_f32_e32 v80, 0xbf75a155, v207
	v_add_f32_e32 v7, v8, v81
	v_fmamk_f32 v8, v101, 0xbf75a155, v82
	v_add_f32_e32 v3, v3, v5
	v_fma_f32 v5, 0xbf75a155, v88, -v228
	v_add_f32_e32 v6, v189, v211
	v_add_f32_e32 v4, v233, v4
	v_fmac_f32_e32 v236, 0xbf7d64f0, v102
	v_mul_f32_e32 v214, 0xbe11bafb, v90
	v_add_f32_e32 v199, v244, v234
	v_fmamk_f32 v10, v102, 0x3e903f40, v80
	v_add_f32_e32 v0, v8, v7
	v_add_f32_e32 v7, v84, v5
	v_fma_f32 v8, 0x3f575c64, v90, -v232
	v_add_f32_e32 v6, v85, v6
	v_add_f32_e32 v9, v193, v215
	;; [unrolled: 1-line block ×3, first 2 shown]
	v_sub_f32_e32 v4, v210, v186
	v_mul_f32_e32 v218, 0x3f575c64, v92
	v_add_f32_e32 v1, v10, v199
	v_add_f32_e32 v7, v8, v7
	v_fma_f32 v8, 0xbf27a4f4, v92, -v235
	v_add_f32_e32 v6, v9, v6
	v_add_f32_e32 v9, v196, v219
	;; [unrolled: 1-line block ×3, first 2 shown]
	v_sub_f32_e32 v10, v214, v188
	v_mul_f32_e32 v223, 0xbf75a155, v94
	v_mul_f32_e32 v239, 0x3ed4b147, v207
	;; [unrolled: 1-line block ×3, first 2 shown]
	v_add_f32_e32 v7, v8, v7
	v_fma_f32 v8, 0x3ed4b147, v94, -v237
	v_add_f32_e32 v6, v9, v6
	v_add_f32_e32 v9, v198, v224
	;; [unrolled: 1-line block ×3, first 2 shown]
	v_sub_f32_e32 v10, v218, v192
	v_add_f32_e32 v7, v8, v7
	v_fma_f32 v8, 0xbe11bafb, v101, -v243
	v_add_f32_e32 v6, v9, v6
	v_add_f32_e32 v9, v200, v239
	;; [unrolled: 1-line block ×3, first 2 shown]
	v_sub_f32_e32 v81, v223, v194
	v_add_f32_e32 v83, v103, v209
	v_add_f32_e32 v4, v8, v7
	;; [unrolled: 1-line block ×3, first 2 shown]
	v_mul_f32_e32 v176, 0xbe11bafb, v88
	v_add_f32_e32 v6, v81, v10
	v_add_f32_e32 v9, v85, v83
	;; [unrolled: 1-line block ×3, first 2 shown]
	v_mul_f32_e32 v227, 0xbf27a4f4, v207
	v_mul_f32_e32 v230, 0x3ed4b147, v101
	;; [unrolled: 1-line block ×3, first 2 shown]
	v_sub_f32_e32 v8, v176, v100
	v_add_f32_e32 v9, v10, v9
	v_add_f32_e32 v10, v164, v217
	v_sub_f32_e32 v83, v230, v197
	v_mul_f32_e32 v216, 0x3ed4b147, v92
	v_add_f32_e32 v8, v84, v8
	v_sub_f32_e32 v81, v212, v104
	v_add_f32_e32 v9, v10, v9
	v_add_f32_e32 v10, v187, v222
	v_fmac_f32_e32 v238, 0xbf68dda4, v89
	v_add_f32_e32 v6, v83, v6
	v_fmac_f32_e32 v203, 0xbf0a6770, v89
	v_fma_f32 v83, 0x3f575c64, v88, -v195
	v_add_f32_e32 v9, v10, v9
	v_add_f32_e32 v10, v191, v227
	v_mul_f32_e32 v221, 0x3f575c64, v94
	v_add_f32_e32 v8, v81, v8
	v_sub_f32_e32 v81, v216, v163
	v_add_f32_e32 v100, v85, v238
	v_add_f32_e32 v9, v10, v9
	v_fma_f32 v10, 0x3ed4b147, v88, -v231
	v_fmac_f32_e32 v241, 0xbf4178ce, v91
	v_fma_f32 v88, 0xbf27a4f4, v90, -v245
	v_add_f32_e32 v85, v85, v203
	v_fmac_f32_e32 v253, 0xbf68dda4, v91
	v_add_f32_e32 v10, v84, v10
	v_add_f32_e32 v83, v84, v83
	v_fma_f32 v84, 0x3ed4b147, v90, -v87
	v_mul_f32_e32 v226, 0xbf27a4f4, v101
	v_add_f32_e32 v8, v81, v8
	v_sub_f32_e32 v81, v221, v185
	v_add_f32_e32 v100, v241, v100
	v_fmac_f32_e32 v242, 0x3e903f40, v93
	v_add_f32_e32 v10, v88, v10
	v_fma_f32 v87, 0xbf75a155, v92, -v248
	v_add_f32_e32 v85, v253, v85
	v_fmac_f32_e32 v255, 0xbf7d64f0, v93
	v_add_f32_e32 v83, v84, v83
	v_fma_f32 v84, 0xbe11bafb, v92, -v86
	v_add_f32_e32 v8, v81, v8
	v_sub_f32_e32 v81, v226, v190
	v_add_f32_e32 v100, v242, v100
	v_fmac_f32_e32 v246, 0x3f7d64f0, v95
	v_add_f32_e32 v10, v87, v10
	v_fma_f32 v86, 0xbe11bafb, v94, -v250
	v_add_f32_e32 v85, v255, v85
	v_fmac_f32_e32 v208, 0xbf4178ce, v95
	v_add_f32_e32 v83, v84, v83
	v_fma_f32 v11, 0xbf27a4f4, v94, -v11
	v_fmamk_f32 v249, v101, 0xbe11bafb, v243
	v_add_f32_e32 v8, v81, v8
	v_add_f32_e32 v81, v246, v100
	v_fmac_f32_e32 v240, 0x3f0a6770, v102
	v_add_f32_e32 v10, v86, v10
	v_fma_f32 v84, 0x3f575c64, v101, -v251
	v_add_f32_e32 v3, v144, v3
	v_add_f32_e32 v2, v143, v2
	;; [unrolled: 1-line block ×3, first 2 shown]
	v_fmac_f32_e32 v80, 0xbe903f40, v102
	v_add_f32_e32 v83, v11, v83
	v_fma_f32 v82, 0xbf75a155, v101, -v82
	v_lshlrev_b32_e32 v86, 3, v167
	v_add_f32_e32 v106, v249, v106
	v_add_f32_e32 v11, v240, v81
	;; [unrolled: 1-line block ×5, first 2 shown]
	ds_write2_b64 v86, v[2:3], v[0:1] offset1:1
	ds_write2_b64 v86, v[205:206], v[96:97] offset0:2 offset1:3
	ds_write2_b64 v86, v[98:99], v[106:107] offset0:4 offset1:5
	;; [unrolled: 1-line block ×4, first 2 shown]
	ds_write_b64 v86, v[80:81] offset:80
.LBB0_17:
	s_or_b32 exec_lo, exec_lo, s1
	v_add_nc_u32_e32 v8, 0x1c00, v165
	v_add_nc_u32_e32 v0, 0x1400, v165
	;; [unrolled: 1-line block ×6, first 2 shown]
	s_waitcnt lgkmcnt(0)
	s_barrier
	buffer_gl0_inv
	ds_read2_b64 v[4:7], v165 offset1:110
	ds_read2_b64 v[0:3], v0 offset0:20 offset1:185
	ds_read2_b64 v[92:95], v8 offset0:39 offset1:149
	;; [unrolled: 1-line block ×6, first 2 shown]
	s_and_saveexec_b32 s1, s0
	s_cbranch_execz .LBB0_19
; %bb.18:
	ds_read_b64 v[96:97], v165 offset:6160
	ds_read_b64 v[98:99], v165 offset:12760
.LBB0_19:
	s_or_b32 exec_lo, exec_lo, s1
	s_waitcnt lgkmcnt(5)
	v_mul_f32_e32 v101, v160, v2
	v_mul_f32_e32 v100, v160, v3
	s_waitcnt lgkmcnt(4)
	v_mul_f32_e32 v102, v158, v93
	v_mul_f32_e32 v103, v158, v92
	s_waitcnt lgkmcnt(0)
	v_mul_f32_e32 v104, v148, v87
	v_fma_f32 v3, v159, v3, -v101
	v_mul_f32_e32 v101, v154, v89
	v_fmac_f32_e32 v100, v159, v2
	v_fmac_f32_e32 v102, v157, v92
	v_mul_f32_e32 v92, v156, v95
	v_mul_f32_e32 v2, v156, v94
	v_fma_f32 v93, v157, v93, -v103
	v_mul_f32_e32 v103, v154, v88
	v_fmac_f32_e32 v101, v153, v88
	v_mul_f32_e32 v88, v152, v84
	v_fmac_f32_e32 v92, v155, v94
	v_fma_f32 v94, v155, v95, -v2
	v_mul_f32_e32 v95, v150, v91
	v_mul_f32_e32 v2, v150, v90
	v_fma_f32 v89, v153, v89, -v103
	v_mul_f32_e32 v103, v152, v85
	v_fma_f32 v105, v151, v85, -v88
	v_mul_f32_e32 v85, v148, v86
	v_fmac_f32_e32 v95, v149, v90
	v_fma_f32 v91, v149, v91, -v2
	v_fmac_f32_e32 v103, v151, v84
	v_fmac_f32_e32 v104, v147, v86
	v_sub_f32_e32 v2, v4, v100
	v_sub_f32_e32 v3, v5, v3
	v_fma_f32 v100, v147, v87, -v85
	v_sub_f32_e32 v84, v6, v102
	v_sub_f32_e32 v85, v7, v93
	;; [unrolled: 1-line block ×8, first 2 shown]
	v_fma_f32 v4, v4, 2.0, -v2
	v_fma_f32 v5, v5, 2.0, -v3
	v_sub_f32_e32 v92, v10, v103
	v_sub_f32_e32 v93, v11, v105
	;; [unrolled: 1-line block ×4, first 2 shown]
	v_fma_f32 v6, v6, 2.0, -v84
	v_fma_f32 v7, v7, 2.0, -v85
	;; [unrolled: 1-line block ×12, first 2 shown]
	s_barrier
	buffer_gl0_inv
	ds_write2_b64 v175, v[4:5], v[2:3] offset1:11
	ds_write2_b64 v174, v[6:7], v[84:85] offset1:11
	;; [unrolled: 1-line block ×7, first 2 shown]
	s_and_saveexec_b32 s1, s0
	s_cbranch_execz .LBB0_21
; %bb.20:
	v_mul_f32_e32 v0, v146, v98
	v_mul_f32_e32 v2, v146, v99
	v_mov_b32_e32 v4, 3
	v_fma_f32 v0, v145, v99, -v0
	v_fmac_f32_e32 v2, v145, v98
	v_lshlrev_b32_sdwa v4, v4, v168 dst_sel:DWORD dst_unused:UNUSED_PAD src0_sel:DWORD src1_sel:WORD_0
	v_sub_f32_e32 v1, v97, v0
	v_sub_f32_e32 v0, v96, v2
	v_fma_f32 v3, v97, 2.0, -v1
	v_fma_f32 v2, v96, 2.0, -v0
	ds_write2_b64 v4, v[2:3], v[0:1] offset1:11
.LBB0_21:
	s_or_b32 exec_lo, exec_lo, s1
	v_add_nc_u32_e32 v4, 0xc00, v165
	v_add_nc_u32_e32 v0, 0x2000, v165
	;; [unrolled: 1-line block ×3, first 2 shown]
	s_waitcnt lgkmcnt(0)
	s_barrier
	buffer_gl0_inv
	ds_read2_b64 v[6:9], v4 offset0:56 offset1:166
	ds_read2_b64 v[80:83], v0 offset0:76 offset1:186
	;; [unrolled: 1-line block ×3, first 2 shown]
	v_add_nc_u32_e32 v1, 0x400, v165
	v_add_nc_u32_e32 v2, 0x2800, v165
	;; [unrolled: 1-line block ×3, first 2 shown]
	ds_read2_b64 v[88:91], v165 offset1:110
	ds_read_b64 v[10:11], v165 offset:12320
	ds_read2_b64 v[92:95], v1 offset0:92 offset1:202
	ds_read2_b64 v[96:99], v2 offset0:40 offset1:150
	;; [unrolled: 1-line block ×3, first 2 shown]
	s_waitcnt lgkmcnt(0)
	s_barrier
	buffer_gl0_inv
	s_mov_b32 s4, 0x3dc013dc
	s_mov_b32 s5, 0x3f43dc01
	s_mul_hi_u32 s1, s8, 0x96
	v_mul_f32_e32 v104, v29, v9
	v_mul_f32_e32 v29, v29, v8
	;; [unrolled: 1-line block ×6, first 2 shown]
	v_fmac_f32_e32 v104, v28, v8
	v_mul_f32_e32 v8, v21, v86
	v_mul_f32_e32 v105, v31, v81
	;; [unrolled: 1-line block ×3, first 2 shown]
	v_fmac_f32_e32 v106, v24, v84
	v_fma_f32 v24, v24, v85, -v25
	v_mul_f32_e32 v25, v21, v87
	v_fma_f32 v21, v26, v83, -v27
	v_fma_f32 v27, v20, v87, -v8
	v_mul_f32_e32 v8, v17, v100
	v_fma_f32 v9, v28, v9, -v29
	v_fmac_f32_e32 v105, v30, v80
	v_fma_f32 v28, v30, v81, -v31
	v_mul_f32_e32 v80, v13, v103
	v_fma_f32 v31, v16, v101, -v8
	v_mul_f32_e32 v8, v13, v102
	v_mul_f32_e32 v13, v15, v10
	v_fmac_f32_e32 v107, v26, v82
	v_mul_f32_e32 v82, v15, v11
	v_sub_f32_e32 v15, v104, v105
	v_fma_f32 v83, v12, v103, -v8
	v_add_f32_e32 v8, v104, v105
	v_fma_f32 v84, v14, v11, -v13
	v_add_f32_e32 v11, v9, v28
	v_fmac_f32_e32 v82, v14, v10
	v_sub_f32_e32 v13, v9, v28
	v_fma_f32 v8, -0.5, v8, v88
	v_add_f32_e32 v14, v89, v9
	v_fma_f32 v9, -0.5, v11, v89
	v_mul_f32_e32 v26, v23, v97
	v_mul_f32_e32 v23, v23, v96
	;; [unrolled: 1-line block ×5, first 2 shown]
	v_fmac_f32_e32 v80, v12, v102
	v_fmamk_f32 v12, v13, 0xbf5db3d7, v8
	v_fmac_f32_e32 v8, 0x3f5db3d7, v13
	v_add_f32_e32 v11, v14, v28
	v_add_f32_e32 v14, v106, v107
	v_fmamk_f32 v13, v15, 0x3f5db3d7, v9
	v_fmac_f32_e32 v9, 0xbf5db3d7, v15
	v_add_f32_e32 v15, v24, v21
	v_fmac_f32_e32 v25, v20, v86
	v_fmac_f32_e32 v26, v22, v96
	v_fma_f32 v23, v22, v97, -v23
	v_fmac_f32_e32 v29, v16, v100
	v_fmac_f32_e32 v30, v18, v98
	v_fma_f32 v81, v18, v99, -v17
	v_add_f32_e32 v16, v90, v106
	v_fma_f32 v90, -0.5, v14, v90
	v_sub_f32_e32 v17, v24, v21
	v_add_f32_e32 v18, v91, v24
	v_fmac_f32_e32 v91, -0.5, v15
	v_sub_f32_e32 v19, v106, v107
	v_add_f32_e32 v14, v16, v107
	v_fmamk_f32 v16, v17, 0xbf5db3d7, v90
	v_fmac_f32_e32 v90, 0x3f5db3d7, v17
	v_add_f32_e32 v15, v18, v21
	v_add_f32_e32 v18, v25, v26
	v_fmamk_f32 v17, v19, 0x3f5db3d7, v91
	v_fmac_f32_e32 v91, 0xbf5db3d7, v19
	v_add_f32_e32 v19, v27, v23
	v_add_f32_e32 v20, v92, v25
	v_fma_f32 v18, -0.5, v18, v92
	v_sub_f32_e32 v21, v27, v23
	v_add_f32_e32 v24, v93, v27
	v_fma_f32 v19, -0.5, v19, v93
	v_sub_f32_e32 v25, v25, v26
	v_add_f32_e32 v20, v20, v26
	v_fmamk_f32 v22, v21, 0xbf5db3d7, v18
	v_fmac_f32_e32 v18, 0x3f5db3d7, v21
	v_add_f32_e32 v21, v24, v23
	v_add_f32_e32 v24, v29, v30
	v_fmamk_f32 v23, v25, 0x3f5db3d7, v19
	v_fmac_f32_e32 v19, 0xbf5db3d7, v25
	v_add_f32_e32 v25, v31, v81
	v_add_f32_e32 v26, v94, v29
	v_fma_f32 v94, -0.5, v24, v94
	v_sub_f32_e32 v27, v31, v81
	v_add_f32_e32 v28, v95, v31
	v_fmac_f32_e32 v95, -0.5, v25
	v_sub_f32_e32 v29, v29, v30
	v_add_f32_e32 v24, v26, v30
	v_fmamk_f32 v26, v27, 0xbf5db3d7, v94
	v_fmac_f32_e32 v94, 0x3f5db3d7, v27
	v_add_f32_e32 v25, v28, v81
	v_add_f32_e32 v28, v80, v82
	v_fmamk_f32 v27, v29, 0x3f5db3d7, v95
	v_fmac_f32_e32 v95, 0xbf5db3d7, v29
	v_add_f32_e32 v29, v83, v84
	v_add_f32_e32 v10, v88, v104
	;; [unrolled: 1-line block ×3, first 2 shown]
	v_fma_f32 v6, -0.5, v28, v6
	v_sub_f32_e32 v31, v83, v84
	v_add_f32_e32 v81, v7, v83
	v_fmac_f32_e32 v7, -0.5, v29
	v_sub_f32_e32 v80, v80, v82
	v_add_f32_e32 v10, v10, v105
	v_add_f32_e32 v28, v30, v82
	v_fmamk_f32 v30, v31, 0xbf5db3d7, v6
	v_fmac_f32_e32 v6, 0x3f5db3d7, v31
	v_add_f32_e32 v29, v81, v84
	v_fmamk_f32 v31, v80, 0x3f5db3d7, v7
	v_fmac_f32_e32 v7, 0xbf5db3d7, v80
	ds_write2_b64 v181, v[10:11], v[12:13] offset1:22
	ds_write_b64 v181, v[8:9] offset:352
	ds_write2_b64 v180, v[14:15], v[16:17] offset1:22
	ds_write_b64 v180, v[90:91] offset:352
	;; [unrolled: 2-line block ×5, first 2 shown]
	s_waitcnt lgkmcnt(0)
	s_barrier
	buffer_gl0_inv
	ds_read2_b64 v[6:9], v1 offset0:92 offset1:202
	ds_read2_b64 v[10:13], v3 offset0:20 offset1:130
	;; [unrolled: 1-line block ×5, first 2 shown]
	ds_read2_b64 v[26:29], v165 offset1:110
	ds_read2_b64 v[80:83], v0 offset0:76 offset1:186
	ds_read_b64 v[30:31], v165 offset:12320
	s_waitcnt lgkmcnt(0)
	s_barrier
	buffer_gl0_inv
	v_mul_f32_e32 v84, v53, v9
	v_mul_f32_e32 v53, v53, v8
	;; [unrolled: 1-line block ×5, first 2 shown]
	v_fmac_f32_e32 v84, v52, v8
	v_fma_f32 v52, v52, v9, -v53
	v_fmac_f32_e32 v85, v54, v10
	v_fma_f32 v53, v54, v11, -v55
	v_mul_f32_e32 v8, v49, v16
	v_mul_f32_e32 v11, v51, v19
	;; [unrolled: 1-line block ×5, first 2 shown]
	v_fma_f32 v45, v48, v17, -v8
	v_fmac_f32_e32 v11, v50, v18
	v_fma_f32 v18, v50, v19, -v9
	v_fmac_f32_e32 v49, v44, v22
	v_fma_f32 v44, v44, v23, -v10
	v_mul_f32_e32 v23, v47, v13
	v_mul_f32_e32 v8, v47, v12
	;; [unrolled: 1-line block ×5, first 2 shown]
	v_fmac_f32_e32 v23, v46, v12
	v_fma_f32 v46, v46, v13, -v8
	v_fmac_f32_e32 v47, v36, v80
	v_fma_f32 v36, v36, v81, -v9
	v_mul_f32_e32 v8, v39, v20
	v_mul_f32_e32 v39, v41, v25
	;; [unrolled: 1-line block ×5, first 2 shown]
	v_fmac_f32_e32 v86, v48, v16
	v_fmac_f32_e32 v39, v40, v24
	v_fma_f32 v40, v40, v25, -v9
	v_fmac_f32_e32 v41, v42, v14
	v_fma_f32 v42, v42, v15, -v10
	v_mul_f32_e32 v9, v33, v82
	v_add_f32_e32 v10, v26, v84
	v_fmac_f32_e32 v37, v38, v20
	v_fma_f32 v38, v38, v21, -v8
	v_add_f32_e32 v8, v85, v86
	v_fma_f32 v48, v32, v83, -v9
	v_add_f32_e32 v9, v10, v85
	v_sub_f32_e32 v12, v84, v85
	v_sub_f32_e32 v14, v11, v86
	v_add_f32_e32 v16, v84, v11
	v_fma_f32 v8, -0.5, v8, v26
	v_sub_f32_e32 v13, v52, v18
	v_sub_f32_e32 v15, v53, v45
	v_mul_f32_e32 v17, v35, v30
	v_add_f32_e32 v9, v9, v86
	v_add_f32_e32 v19, v12, v14
	v_fma_f32 v12, -0.5, v16, v26
	v_fmamk_f32 v10, v13, 0xbf737871, v8
	v_fma_f32 v50, v34, v31, -v17
	v_add_f32_e32 v14, v9, v11
	v_fmac_f32_e32 v8, 0x3f737871, v13
	v_fmamk_f32 v16, v15, 0x3f737871, v12
	v_sub_f32_e32 v9, v85, v84
	v_sub_f32_e32 v17, v86, v11
	v_add_f32_e32 v20, v27, v52
	v_add_f32_e32 v21, v53, v45
	v_fmac_f32_e32 v12, 0xbf737871, v15
	v_fmac_f32_e32 v10, 0xbf167918, v15
	v_fmac_f32_e32 v8, 0x3f167918, v15
	v_fmac_f32_e32 v16, 0xbf167918, v13
	v_add_f32_e32 v17, v9, v17
	v_add_f32_e32 v15, v20, v53
	v_fma_f32 v9, -0.5, v21, v27
	v_sub_f32_e32 v21, v84, v11
	v_fmac_f32_e32 v12, 0x3f167918, v13
	v_add_f32_e32 v13, v52, v18
	v_mul_f32_e32 v43, v33, v83
	v_mul_f32_e32 v33, v35, v31
	v_fmac_f32_e32 v10, 0x3e9e377a, v19
	v_fmac_f32_e32 v8, 0x3e9e377a, v19
	v_add_f32_e32 v15, v15, v45
	v_fmamk_f32 v11, v21, 0x3f737871, v9
	v_sub_f32_e32 v19, v85, v86
	v_sub_f32_e32 v20, v52, v53
	;; [unrolled: 1-line block ×3, first 2 shown]
	v_fma_f32 v13, -0.5, v13, v27
	v_fmac_f32_e32 v9, 0xbf737871, v21
	v_add_f32_e32 v25, v28, v49
	v_fmac_f32_e32 v33, v34, v30
	v_fmac_f32_e32 v16, 0x3e9e377a, v17
	;; [unrolled: 1-line block ×3, first 2 shown]
	v_add_f32_e32 v15, v15, v18
	v_fmac_f32_e32 v11, 0x3f167918, v19
	v_add_f32_e32 v20, v20, v22
	v_fmamk_f32 v17, v19, 0xbf737871, v13
	v_sub_f32_e32 v22, v53, v52
	v_sub_f32_e32 v18, v45, v18
	v_add_f32_e32 v24, v23, v47
	v_fmac_f32_e32 v9, 0xbf167918, v19
	v_fmac_f32_e32 v13, 0x3f737871, v19
	v_add_f32_e32 v19, v25, v23
	v_add_f32_e32 v30, v49, v37
	v_fmac_f32_e32 v17, 0x3f167918, v21
	v_add_f32_e32 v22, v22, v18
	v_fma_f32 v18, -0.5, v24, v28
	v_sub_f32_e32 v26, v44, v38
	v_sub_f32_e32 v25, v46, v36
	;; [unrolled: 1-line block ×4, first 2 shown]
	v_fmac_f32_e32 v13, 0xbf167918, v21
	v_add_f32_e32 v19, v19, v47
	v_fma_f32 v28, -0.5, v30, v28
	v_fmac_f32_e32 v11, 0x3e9e377a, v20
	v_fmac_f32_e32 v9, 0x3e9e377a, v20
	;; [unrolled: 1-line block ×3, first 2 shown]
	v_fmamk_f32 v20, v26, 0xbf737871, v18
	v_add_f32_e32 v21, v24, v27
	v_fmac_f32_e32 v13, 0x3e9e377a, v22
	v_add_f32_e32 v22, v19, v37
	v_fmac_f32_e32 v18, 0x3f737871, v26
	v_fmamk_f32 v24, v25, 0x3f737871, v28
	v_sub_f32_e32 v19, v23, v49
	v_sub_f32_e32 v27, v47, v37
	v_add_f32_e32 v30, v29, v44
	v_add_f32_e32 v31, v46, v36
	v_fmac_f32_e32 v28, 0xbf737871, v25
	v_fmac_f32_e32 v43, v32, v82
	;; [unrolled: 1-line block ×5, first 2 shown]
	v_add_f32_e32 v27, v19, v27
	v_add_f32_e32 v25, v30, v46
	v_fma_f32 v19, -0.5, v31, v29
	v_sub_f32_e32 v30, v49, v37
	v_fmac_f32_e32 v28, 0x3f167918, v26
	v_add_f32_e32 v26, v44, v38
	v_sub_f32_e32 v32, v44, v46
	v_sub_f32_e32 v34, v38, v36
	v_fmac_f32_e32 v20, 0x3e9e377a, v21
	v_fmac_f32_e32 v18, 0x3e9e377a, v21
	v_fmac_f32_e32 v24, 0x3e9e377a, v27
	v_add_f32_e32 v25, v25, v36
	v_fmamk_f32 v21, v30, 0x3f737871, v19
	v_sub_f32_e32 v31, v23, v47
	v_fmac_f32_e32 v28, 0x3e9e377a, v27
	v_fmac_f32_e32 v29, -0.5, v26
	v_add_f32_e32 v27, v32, v34
	v_fmac_f32_e32 v19, 0xbf737871, v30
	v_sub_f32_e32 v26, v46, v44
	v_sub_f32_e32 v32, v36, v38
	v_add_f32_e32 v34, v41, v43
	v_add_f32_e32 v23, v25, v38
	v_fmac_f32_e32 v21, 0x3f167918, v31
	v_fmamk_f32 v25, v31, 0xbf737871, v29
	v_fmac_f32_e32 v19, 0xbf167918, v31
	v_add_f32_e32 v32, v26, v32
	v_fmac_f32_e32 v29, 0x3f737871, v31
	v_add_f32_e32 v31, v6, v39
	v_fma_f32 v26, -0.5, v34, v6
	v_sub_f32_e32 v35, v40, v50
	v_fmac_f32_e32 v21, 0x3e9e377a, v27
	v_fmac_f32_e32 v25, 0x3f167918, v30
	;; [unrolled: 1-line block ×4, first 2 shown]
	v_add_f32_e32 v27, v31, v41
	v_fmamk_f32 v30, v35, 0xbf737871, v26
	v_sub_f32_e32 v31, v42, v48
	v_sub_f32_e32 v34, v39, v41
	;; [unrolled: 1-line block ×3, first 2 shown]
	v_fmac_f32_e32 v26, 0x3f737871, v35
	v_add_f32_e32 v37, v39, v33
	v_add_f32_e32 v27, v27, v43
	v_fmac_f32_e32 v30, 0xbf167918, v31
	v_add_f32_e32 v34, v34, v36
	v_fmac_f32_e32 v26, 0x3f167918, v31
	v_fma_f32 v6, -0.5, v37, v6
	v_sub_f32_e32 v36, v41, v39
	v_sub_f32_e32 v37, v43, v33
	v_fmac_f32_e32 v25, 0x3e9e377a, v32
	v_fmac_f32_e32 v29, 0x3e9e377a, v32
	v_add_f32_e32 v32, v27, v33
	v_fmac_f32_e32 v30, 0x3e9e377a, v34
	v_fmac_f32_e32 v26, 0x3e9e377a, v34
	v_fmamk_f32 v34, v31, 0x3f737871, v6
	v_add_f32_e32 v27, v42, v48
	v_fmac_f32_e32 v6, 0xbf737871, v31
	v_add_f32_e32 v31, v7, v40
	v_add_f32_e32 v36, v36, v37
	;; [unrolled: 1-line block ×3, first 2 shown]
	v_fma_f32 v27, -0.5, v27, v7
	v_sub_f32_e32 v33, v39, v33
	v_fmac_f32_e32 v34, 0xbf167918, v35
	v_fmac_f32_e32 v6, 0x3f167918, v35
	v_add_f32_e32 v35, v31, v42
	v_sub_f32_e32 v38, v41, v43
	v_fmac_f32_e32 v7, -0.5, v37
	v_fmamk_f32 v31, v33, 0x3f737871, v27
	v_fmac_f32_e32 v34, 0x3e9e377a, v36
	v_fmac_f32_e32 v6, 0x3e9e377a, v36
	v_add_f32_e32 v36, v35, v48
	v_sub_f32_e32 v37, v40, v42
	v_sub_f32_e32 v39, v50, v48
	v_fmac_f32_e32 v27, 0xbf737871, v33
	v_fmamk_f32 v35, v38, 0xbf737871, v7
	v_sub_f32_e32 v40, v42, v40
	v_sub_f32_e32 v41, v48, v50
	v_fmac_f32_e32 v7, 0x3f737871, v38
	v_fmac_f32_e32 v31, 0x3f167918, v38
	v_add_f32_e32 v37, v37, v39
	v_fmac_f32_e32 v27, 0xbf167918, v38
	v_fmac_f32_e32 v35, 0x3f167918, v33
	v_add_f32_e32 v38, v40, v41
	v_fmac_f32_e32 v7, 0xbf167918, v33
	v_add_f32_e32 v33, v36, v50
	v_fmac_f32_e32 v31, 0x3e9e377a, v37
	v_fmac_f32_e32 v27, 0x3e9e377a, v37
	;; [unrolled: 1-line block ×4, first 2 shown]
	ds_write2_b64 v182, v[14:15], v[10:11] offset1:66
	ds_write2_b64 v182, v[16:17], v[12:13] offset0:132 offset1:198
	ds_write_b64 v182, v[8:9] offset:2112
	ds_write2_b64 v184, v[22:23], v[20:21] offset1:66
	ds_write2_b64 v184, v[24:25], v[28:29] offset0:132 offset1:198
	ds_write_b64 v184, v[18:19] offset:2112
	ds_write2_b64 v183, v[32:33], v[30:31] offset1:66
	ds_write2_b64 v183, v[34:35], v[6:7] offset0:132 offset1:198
	ds_write_b64 v183, v[26:27] offset:2112
	s_waitcnt lgkmcnt(0)
	s_barrier
	buffer_gl0_inv
	ds_read2_b64 v[6:9], v1 offset0:92 offset1:202
	ds_read2_b64 v[10:13], v3 offset0:20 offset1:130
	;; [unrolled: 1-line block ×5, first 2 shown]
	ds_read2_b64 v[26:29], v165 offset1:110
	ds_read2_b64 v[30:33], v0 offset0:76 offset1:186
	ds_read_b64 v[34:35], v165 offset:12320
	s_waitcnt lgkmcnt(7)
	v_mul_f32_e32 v37, v77, v8
	s_waitcnt lgkmcnt(6)
	v_mul_f32_e32 v39, v79, v10
	v_mul_f32_e32 v36, v77, v9
	;; [unrolled: 1-line block ×3, first 2 shown]
	s_waitcnt lgkmcnt(5)
	v_mul_f32_e32 v40, v73, v17
	v_fma_f32 v37, v76, v9, -v37
	v_fma_f32 v39, v78, v11, -v39
	s_waitcnt lgkmcnt(4)
	v_mul_f32_e32 v11, v75, v19
	v_mul_f32_e32 v9, v75, v18
	v_fmac_f32_e32 v36, v76, v8
	v_fmac_f32_e32 v38, v78, v10
	v_mul_f32_e32 v8, v73, v16
	s_waitcnt lgkmcnt(3)
	v_mul_f32_e32 v10, v69, v22
	v_fmac_f32_e32 v11, v74, v18
	v_fma_f32 v18, v74, v19, -v9
	s_waitcnt lgkmcnt(1)
	v_mul_f32_e32 v44, v61, v31
	v_mul_f32_e32 v9, v61, v30
	v_fma_f32 v42, v72, v17, -v8
	v_fma_f32 v43, v68, v23, -v10
	v_mul_f32_e32 v8, v71, v12
	v_fmac_f32_e32 v44, v60, v30
	v_fma_f32 v30, v60, v31, -v9
	v_mul_f32_e32 v9, v65, v24
	v_mul_f32_e32 v10, v67, v14
	v_fmac_f32_e32 v40, v72, v16
	v_mul_f32_e32 v41, v69, v23
	v_mul_f32_e32 v23, v71, v13
	v_fma_f32 v46, v70, v13, -v8
	v_mul_f32_e32 v8, v63, v20
	v_mul_f32_e32 v47, v67, v15
	v_fma_f32 v49, v64, v25, -v9
	v_fma_f32 v50, v66, v15, -v10
	v_mul_f32_e32 v9, v57, v32
	v_add_f32_e32 v10, v26, v36
	v_fmac_f32_e32 v23, v70, v12
	v_fma_f32 v48, v62, v21, -v8
	v_fmac_f32_e32 v47, v66, v14
	v_add_f32_e32 v8, v38, v40
	v_mul_f32_e32 v51, v57, v33
	v_fma_f32 v33, v56, v33, -v9
	v_add_f32_e32 v9, v10, v38
	v_sub_f32_e32 v12, v36, v38
	v_sub_f32_e32 v14, v11, v40
	v_add_f32_e32 v16, v36, v11
	v_mul_f32_e32 v45, v63, v21
	v_fma_f32 v8, -0.5, v8, v26
	v_sub_f32_e32 v13, v37, v18
	v_sub_f32_e32 v15, v39, v42
	s_waitcnt lgkmcnt(0)
	v_mul_f32_e32 v17, v59, v34
	v_add_f32_e32 v9, v9, v40
	v_add_f32_e32 v19, v12, v14
	v_fma_f32 v12, -0.5, v16, v26
	v_fmac_f32_e32 v45, v62, v20
	v_fmamk_f32 v10, v13, 0xbf737871, v8
	v_fma_f32 v53, v58, v35, -v17
	v_add_f32_e32 v14, v9, v11
	v_fmac_f32_e32 v8, 0x3f737871, v13
	v_fmamk_f32 v16, v15, 0x3f737871, v12
	v_sub_f32_e32 v9, v38, v36
	v_sub_f32_e32 v17, v40, v11
	v_add_f32_e32 v20, v27, v37
	v_add_f32_e32 v21, v39, v42
	v_fmac_f32_e32 v12, 0xbf737871, v15
	v_fmac_f32_e32 v41, v68, v22
	;; [unrolled: 1-line block ×5, first 2 shown]
	v_add_f32_e32 v17, v9, v17
	v_add_f32_e32 v15, v20, v39
	v_fma_f32 v9, -0.5, v21, v27
	v_sub_f32_e32 v21, v36, v11
	v_fmac_f32_e32 v12, 0x3f167918, v13
	v_add_f32_e32 v13, v37, v18
	v_mul_f32_e32 v31, v65, v25
	v_fmac_f32_e32 v10, 0x3e9e377a, v19
	v_fmac_f32_e32 v8, 0x3e9e377a, v19
	v_add_f32_e32 v15, v15, v42
	v_fmamk_f32 v11, v21, 0x3f737871, v9
	v_sub_f32_e32 v19, v38, v40
	v_sub_f32_e32 v20, v37, v39
	;; [unrolled: 1-line block ×3, first 2 shown]
	v_fma_f32 v13, -0.5, v13, v27
	v_fmac_f32_e32 v9, 0xbf737871, v21
	v_add_f32_e32 v25, v28, v41
	v_fmac_f32_e32 v31, v64, v24
	v_fmac_f32_e32 v51, v56, v32
	;; [unrolled: 1-line block ×4, first 2 shown]
	v_add_f32_e32 v15, v15, v18
	v_fmac_f32_e32 v11, 0x3f167918, v19
	v_add_f32_e32 v20, v20, v22
	v_fmamk_f32 v17, v19, 0xbf737871, v13
	v_sub_f32_e32 v22, v39, v37
	v_sub_f32_e32 v18, v42, v18
	v_add_f32_e32 v24, v23, v44
	v_fmac_f32_e32 v9, 0xbf167918, v19
	v_fmac_f32_e32 v13, 0x3f737871, v19
	v_add_f32_e32 v19, v25, v23
	v_add_f32_e32 v32, v41, v45
	v_mul_f32_e32 v52, v59, v35
	v_fmac_f32_e32 v17, 0x3f167918, v21
	v_add_f32_e32 v22, v22, v18
	v_fma_f32 v18, -0.5, v24, v28
	v_sub_f32_e32 v26, v43, v48
	v_sub_f32_e32 v25, v46, v30
	;; [unrolled: 1-line block ×4, first 2 shown]
	v_fmac_f32_e32 v13, 0xbf167918, v21
	v_add_f32_e32 v19, v19, v44
	v_fma_f32 v28, -0.5, v32, v28
	v_fmac_f32_e32 v52, v58, v34
	v_fmac_f32_e32 v11, 0x3e9e377a, v20
	;; [unrolled: 1-line block ×4, first 2 shown]
	v_fmamk_f32 v20, v26, 0xbf737871, v18
	v_add_f32_e32 v21, v24, v27
	v_fmac_f32_e32 v13, 0x3e9e377a, v22
	v_add_f32_e32 v22, v19, v45
	v_fmac_f32_e32 v18, 0x3f737871, v26
	v_fmamk_f32 v24, v25, 0x3f737871, v28
	v_sub_f32_e32 v19, v23, v41
	v_sub_f32_e32 v27, v44, v45
	v_add_f32_e32 v32, v29, v43
	v_add_f32_e32 v34, v46, v30
	v_fmac_f32_e32 v28, 0xbf737871, v25
	v_fmac_f32_e32 v20, 0xbf167918, v25
	;; [unrolled: 1-line block ×4, first 2 shown]
	v_add_f32_e32 v27, v19, v27
	v_add_f32_e32 v25, v32, v46
	v_fma_f32 v19, -0.5, v34, v29
	v_sub_f32_e32 v32, v41, v45
	v_fmac_f32_e32 v28, 0x3f167918, v26
	v_add_f32_e32 v26, v43, v48
	v_sub_f32_e32 v35, v43, v46
	v_sub_f32_e32 v36, v48, v30
	v_fmac_f32_e32 v20, 0x3e9e377a, v21
	v_fmac_f32_e32 v18, 0x3e9e377a, v21
	;; [unrolled: 1-line block ×3, first 2 shown]
	v_add_f32_e32 v25, v25, v30
	v_fmamk_f32 v21, v32, 0x3f737871, v19
	v_sub_f32_e32 v34, v23, v44
	v_fmac_f32_e32 v28, 0x3e9e377a, v27
	v_fmac_f32_e32 v29, -0.5, v26
	v_add_f32_e32 v27, v35, v36
	v_fmac_f32_e32 v19, 0xbf737871, v32
	v_sub_f32_e32 v26, v46, v43
	v_sub_f32_e32 v30, v30, v48
	v_add_f32_e32 v35, v47, v51
	v_add_f32_e32 v23, v25, v48
	v_fmac_f32_e32 v21, 0x3f167918, v34
	v_fmamk_f32 v25, v34, 0xbf737871, v29
	v_fmac_f32_e32 v19, 0xbf167918, v34
	v_add_f32_e32 v36, v26, v30
	v_fmac_f32_e32 v29, 0x3f737871, v34
	v_add_f32_e32 v30, v6, v31
	v_fma_f32 v26, -0.5, v35, v6
	v_sub_f32_e32 v35, v49, v53
	v_fmac_f32_e32 v21, 0x3e9e377a, v27
	v_fmac_f32_e32 v25, 0x3f167918, v32
	;; [unrolled: 1-line block ×4, first 2 shown]
	v_add_f32_e32 v27, v30, v47
	v_fmamk_f32 v30, v35, 0xbf737871, v26
	v_sub_f32_e32 v37, v50, v33
	v_sub_f32_e32 v32, v31, v47
	v_sub_f32_e32 v34, v52, v51
	v_fmac_f32_e32 v26, 0x3f737871, v35
	v_add_f32_e32 v38, v31, v52
	v_fmac_f32_e32 v30, 0xbf167918, v37
	v_add_f32_e32 v27, v27, v51
	v_add_f32_e32 v34, v32, v34
	v_fmac_f32_e32 v26, 0x3f167918, v37
	v_fma_f32 v6, -0.5, v38, v6
	v_fmac_f32_e32 v25, 0x3e9e377a, v36
	v_fmac_f32_e32 v29, 0x3e9e377a, v36
	;; [unrolled: 1-line block ×4, first 2 shown]
	v_fmamk_f32 v34, v37, 0x3f737871, v6
	v_fmac_f32_e32 v6, 0xbf737871, v37
	v_add_f32_e32 v37, v7, v49
	v_add_f32_e32 v32, v27, v52
	;; [unrolled: 1-line block ×3, first 2 shown]
	v_sub_f32_e32 v36, v47, v31
	v_sub_f32_e32 v38, v51, v52
	v_fmac_f32_e32 v34, 0xbf167918, v35
	v_fmac_f32_e32 v6, 0x3f167918, v35
	v_add_f32_e32 v35, v37, v50
	v_add_f32_e32 v37, v49, v53
	v_fma_f32 v27, -0.5, v27, v7
	v_sub_f32_e32 v39, v31, v52
	v_add_f32_e32 v36, v36, v38
	v_sub_f32_e32 v38, v47, v51
	v_fmac_f32_e32 v7, -0.5, v37
	v_sub_f32_e32 v37, v49, v50
	v_fmamk_f32 v31, v39, 0x3f737871, v27
	v_fmac_f32_e32 v34, 0x3e9e377a, v36
	v_fmac_f32_e32 v6, 0x3e9e377a, v36
	v_add_f32_e32 v36, v35, v33
	v_sub_f32_e32 v40, v53, v33
	v_fmac_f32_e32 v27, 0xbf737871, v39
	v_fmamk_f32 v35, v38, 0xbf737871, v7
	v_sub_f32_e32 v41, v50, v49
	v_sub_f32_e32 v33, v33, v53
	v_fmac_f32_e32 v7, 0x3f737871, v38
	v_fmac_f32_e32 v31, 0x3f167918, v38
	v_add_f32_e32 v37, v37, v40
	v_fmac_f32_e32 v27, 0xbf167918, v38
	v_add_f32_e32 v38, v41, v33
	v_fmac_f32_e32 v7, 0xbf167918, v39
	v_fmac_f32_e32 v35, 0x3f167918, v39
	v_add_f32_e32 v33, v36, v53
	v_fmac_f32_e32 v31, 0x3e9e377a, v37
	v_fmac_f32_e32 v27, 0x3e9e377a, v37
	;; [unrolled: 1-line block ×4, first 2 shown]
	ds_write2_b64 v165, v[14:15], v[22:23] offset1:110
	ds_write2_b64 v3, v[16:17], v[24:25] offset0:20 offset1:130
	ds_write2_b64 v2, v[8:9], v[18:19] offset0:40 offset1:150
	;; [unrolled: 1-line block ×6, first 2 shown]
	ds_write_b64 v165, v[26:27] offset:12320
	s_waitcnt lgkmcnt(0)
	s_barrier
	buffer_gl0_inv
	ds_read2_b64 v[5:8], v165 offset1:150
	v_add_nc_u32_e32 v14, 0x800, v165
	v_mad_u64_u32 v[9:10], null, s10, v122, 0
	v_add_nc_u32_e32 v29, 0x2400, v165
	s_waitcnt lgkmcnt(0)
	v_mul_f32_e32 v0, v136, v6
	v_mul_f32_e32 v1, v136, v5
	;; [unrolled: 1-line block ×4, first 2 shown]
	v_fmac_f32_e32 v0, v135, v5
	v_fma_f32 v5, v135, v6, -v1
	v_fmac_f32_e32 v15, v133, v7
	v_fma_f32 v17, v133, v8, -v13
	v_cvt_f64_f32_e32 v[0:1], v0
	v_cvt_f64_f32_e32 v[5:6], v5
	;; [unrolled: 1-line block ×4, first 2 shown]
	v_mul_f64 v[0:1], v[0:1], s[4:5]
	v_mul_f64 v[11:12], v[5:6], s[4:5]
	ds_read2_b64 v[5:8], v14 offset0:44 offset1:194
	v_mad_u64_u32 v[13:14], null, s8, v166, 0
	v_mul_f64 v[15:16], v[15:16], s[4:5]
	v_cvt_f32_f64_e32 v0, v[0:1]
	v_mad_u64_u32 v[19:20], null, s11, v122, v[10:11]
	v_mov_b32_e32 v10, v14
	v_cvt_f32_f64_e32 v1, v[11:12]
	v_mad_u64_u32 v[20:21], null, s9, v166, v[10:11]
	v_mov_b32_e32 v10, v19
	s_waitcnt lgkmcnt(0)
	v_mul_f32_e32 v19, v142, v6
	v_mul_f32_e32 v21, v142, v5
	v_lshlrev_b64 v[9:10], 3, v[9:10]
	v_fmac_f32_e32 v19, v141, v5
	v_fma_f32 v11, v141, v6, -v21
	v_mul_f64 v[5:6], v[17:18], s[4:5]
	v_mov_b32_e32 v14, v20
	v_cvt_f64_f32_e32 v[17:18], v19
	v_cvt_f64_f32_e32 v[19:20], v11
	v_add_nc_u32_e32 v11, 0x1000, v165
	v_add_co_u32 v21, s0, s2, v9
	v_add_co_ci_u32_e64 v22, s0, s3, v10, s0
	ds_read2_b64 v[9:12], v11 offset0:88 offset1:238
	v_lshlrev_b64 v[13:14], 3, v[13:14]
	v_add_co_u32 v13, s0, v21, v13
	v_add_co_ci_u32_e64 v14, s0, v22, v14, s0
	s_mul_i32 s0, s9, 0x96
	s_add_i32 s1, s1, s0
	global_store_dwordx2 v[13:14], v[0:1], off
	v_cvt_f32_f64_e32 v1, v[5:6]
	v_mul_f32_e32 v5, v140, v8
	v_cvt_f32_f64_e32 v0, v[15:16]
	v_mul_f64 v[15:16], v[17:18], s[4:5]
	v_mul_f32_e32 v6, v140, v7
	s_waitcnt lgkmcnt(0)
	v_mul_f32_e32 v21, v138, v9
	v_fmac_f32_e32 v5, v139, v7
	v_mul_f32_e32 v7, v138, v10
	v_mul_f64 v[17:18], v[19:20], s[4:5]
	v_fma_f32 v6, v139, v8, -v6
	s_mul_i32 s0, s8, 0x96
	v_cvt_f64_f32_e32 v[19:20], v5
	v_fmac_f32_e32 v7, v137, v9
	v_fma_f32 v5, v137, v10, -v21
	v_cvt_f64_f32_e32 v[9:10], v6
	v_add_nc_u32_e32 v6, 0x1c00, v165
	s_lshl_b64 s[2:3], s[0:1], 3
	v_cvt_f64_f32_e32 v[21:22], v7
	v_cvt_f64_f32_e32 v[23:24], v5
	v_add_co_u32 v25, s0, v13, s2
	v_add_co_ci_u32_e64 v26, s0, s3, v14, s0
	ds_read2_b64 v[5:8], v6 offset0:4 offset1:154
	v_mul_f32_e32 v30, v132, v11
	v_cvt_f32_f64_e32 v27, v[15:16]
	ds_read2_b64 v[13:16], v29 offset0:48 offset1:198
	v_mul_f32_e32 v29, v132, v12
	v_fma_f32 v31, v131, v12, -v30
	v_cvt_f32_f64_e32 v28, v[17:18]
	v_add_co_u32 v17, s0, v25, s2
	v_fmac_f32_e32 v29, v131, v11
	v_mul_f64 v[19:20], v[19:20], s[4:5]
	v_cvt_f64_f32_e32 v[31:32], v31
	v_mul_f64 v[9:10], v[9:10], s[4:5]
	v_add_co_ci_u32_e64 v18, s0, s3, v26, s0
	v_mul_f64 v[11:12], v[21:22], s[4:5]
	v_mul_f64 v[21:22], v[23:24], s[4:5]
	v_cvt_f64_f32_e32 v[23:24], v29
	ds_read_b64 v[29:30], v165 offset:12000
	s_waitcnt lgkmcnt(2)
	v_mul_f32_e32 v33, v126, v6
	v_mul_f32_e32 v34, v126, v5
	;; [unrolled: 1-line block ×3, first 2 shown]
	s_waitcnt lgkmcnt(1)
	v_mul_f32_e32 v37, v121, v14
	v_mul_f32_e32 v36, v124, v7
	v_fmac_f32_e32 v33, v125, v5
	v_fma_f32 v34, v125, v6, -v34
	v_mul_f32_e32 v39, v128, v16
	v_fmac_f32_e32 v37, v120, v13
	v_mul_f32_e32 v13, v121, v13
	v_mul_f32_e32 v40, v128, v15
	v_fmac_f32_e32 v35, v123, v7
	v_fma_f32 v36, v123, v8, -v36
	v_cvt_f64_f32_e32 v[5:6], v33
	v_cvt_f64_f32_e32 v[7:8], v34
	v_fma_f32 v13, v120, v14, -v13
	v_fmac_f32_e32 v39, v127, v15
	v_fma_f32 v40, v127, v16, -v40
	v_cvt_f64_f32_e32 v[33:34], v35
	s_waitcnt lgkmcnt(0)
	v_mul_f32_e32 v41, v130, v30
	v_mul_f32_e32 v42, v130, v29
	v_cvt_f64_f32_e32 v[35:36], v36
	v_cvt_f64_f32_e32 v[37:38], v37
	v_cvt_f64_f32_e32 v[13:14], v13
	v_fmac_f32_e32 v41, v129, v29
	v_fma_f32 v42, v129, v30, -v42
	v_cvt_f64_f32_e32 v[15:16], v39
	v_cvt_f64_f32_e32 v[29:30], v40
	global_store_dwordx2 v[25:26], v[0:1], off
	global_store_dwordx2 v[17:18], v[27:28], off
	v_cvt_f64_f32_e32 v[39:40], v41
	v_cvt_f64_f32_e32 v[41:42], v42
	v_cvt_f32_f64_e32 v0, v[19:20]
	v_cvt_f32_f64_e32 v1, v[9:10]
	v_mul_f64 v[9:10], v[23:24], s[4:5]
	v_mul_f64 v[19:20], v[31:32], s[4:5]
	;; [unrolled: 1-line block ×4, first 2 shown]
	v_cvt_f32_f64_e32 v11, v[11:12]
	v_cvt_f32_f64_e32 v12, v[21:22]
	v_add_co_u32 v17, s0, v17, s2
	v_mul_f64 v[21:22], v[33:34], s[4:5]
	v_add_co_ci_u32_e64 v18, s0, s3, v18, s0
	v_mul_f64 v[23:24], v[35:36], s[4:5]
	v_mul_f64 v[25:26], v[37:38], s[4:5]
	;; [unrolled: 1-line block ×3, first 2 shown]
	v_add_co_u32 v33, s0, v17, s2
	v_mul_f64 v[15:16], v[15:16], s[4:5]
	v_mul_f64 v[27:28], v[29:30], s[4:5]
	;; [unrolled: 1-line block ×4, first 2 shown]
	v_add_co_ci_u32_e64 v34, s0, s3, v18, s0
	v_cvt_f32_f64_e32 v9, v[9:10]
	v_cvt_f32_f64_e32 v10, v[19:20]
	v_add_co_u32 v19, s0, v33, s2
	v_add_co_ci_u32_e64 v20, s0, s3, v34, s0
	v_cvt_f32_f64_e32 v5, v[5:6]
	v_cvt_f32_f64_e32 v6, v[7:8]
	v_add_co_u32 v7, s0, v19, s2
	v_add_co_ci_u32_e64 v8, s0, s3, v20, s0
	v_cvt_f32_f64_e32 v21, v[21:22]
	v_cvt_f32_f64_e32 v22, v[23:24]
	;; [unrolled: 1-line block ×3, first 2 shown]
	v_add_co_u32 v25, s0, v7, s2
	v_cvt_f32_f64_e32 v24, v[13:14]
	v_add_co_ci_u32_e64 v26, s0, s3, v8, s0
	v_cvt_f32_f64_e32 v13, v[15:16]
	v_cvt_f32_f64_e32 v14, v[27:28]
	;; [unrolled: 1-line block ×4, first 2 shown]
	global_store_dwordx2 v[17:18], v[0:1], off
	v_add_co_u32 v17, s0, v25, s2
	v_add_co_ci_u32_e64 v18, s0, s3, v26, s0
	global_store_dwordx2 v[33:34], v[11:12], off
	v_add_co_u32 v11, s0, v17, s2
	v_add_co_ci_u32_e64 v12, s0, s3, v18, s0
	;; [unrolled: 3-line block ×3, first 2 shown]
	global_store_dwordx2 v[7:8], v[5:6], off
	global_store_dwordx2 v[25:26], v[21:22], off
	global_store_dwordx2 v[17:18], v[23:24], off
	global_store_dwordx2 v[11:12], v[13:14], off
	global_store_dwordx2 v[0:1], v[15:16], off
	s_and_b32 exec_lo, exec_lo, vcc_lo
	s_cbranch_execz .LBB0_23
; %bb.22:
	global_load_dwordx2 v[9:10], v[118:119], off offset:880
	v_add_nc_u32_e32 v5, 0x200, v165
	v_mad_u64_u32 v[0:1], null, 0xffffd490, s8, v[0:1]
	s_mul_i32 s0, s9, 0xffffd490
	ds_read2_b64 v[5:8], v5 offset0:46 offset1:196
	s_sub_i32 s0, s0, s8
	v_add_nc_u32_e32 v1, s0, v1
	s_waitcnt vmcnt(0) lgkmcnt(0)
	v_mul_f32_e32 v11, v6, v10
	v_mul_f32_e32 v10, v5, v10
	v_fmac_f32_e32 v11, v5, v9
	v_fma_f32 v9, v9, v6, -v10
	v_cvt_f64_f32_e32 v[5:6], v11
	v_cvt_f64_f32_e32 v[9:10], v9
	v_mul_f64 v[5:6], v[5:6], s[4:5]
	v_mul_f64 v[9:10], v[9:10], s[4:5]
	v_cvt_f32_f64_e32 v5, v[5:6]
	v_cvt_f32_f64_e32 v6, v[9:10]
	global_store_dwordx2 v[0:1], v[5:6], off
	global_load_dwordx2 v[5:6], v[116:117], off offset:32
	v_add_co_u32 v0, vcc_lo, v0, s2
	v_add_co_ci_u32_e32 v1, vcc_lo, s3, v1, vcc_lo
	s_waitcnt vmcnt(0)
	v_mul_f32_e32 v9, v8, v6
	v_mul_f32_e32 v6, v7, v6
	v_fmac_f32_e32 v9, v7, v5
	v_fma_f32 v7, v5, v8, -v6
	v_cvt_f64_f32_e32 v[5:6], v9
	v_cvt_f64_f32_e32 v[7:8], v7
	v_mul_f64 v[5:6], v[5:6], s[4:5]
	v_mul_f64 v[7:8], v[7:8], s[4:5]
	v_cvt_f32_f64_e32 v5, v[5:6]
	v_cvt_f32_f64_e32 v6, v[7:8]
	global_store_dwordx2 v[0:1], v[5:6], off
	global_load_dwordx2 v[8:9], v[116:117], off offset:1232
	ds_read2_b64 v[4:7], v4 offset0:26 offset1:176
	v_add_co_u32 v0, vcc_lo, v0, s2
	v_add_co_ci_u32_e32 v1, vcc_lo, s3, v1, vcc_lo
	s_waitcnt vmcnt(0) lgkmcnt(0)
	v_mul_f32_e32 v10, v5, v9
	v_mul_f32_e32 v9, v4, v9
	v_fmac_f32_e32 v10, v4, v8
	v_fma_f32 v8, v8, v5, -v9
	v_cvt_f64_f32_e32 v[4:5], v10
	v_cvt_f64_f32_e32 v[8:9], v8
	v_mul_f64 v[4:5], v[4:5], s[4:5]
	v_mul_f64 v[8:9], v[8:9], s[4:5]
	v_cvt_f32_f64_e32 v4, v[4:5]
	v_cvt_f32_f64_e32 v5, v[8:9]
	global_store_dwordx2 v[0:1], v[4:5], off
	global_load_dwordx2 v[4:5], v[114:115], off offset:384
	v_add_co_u32 v0, vcc_lo, v0, s2
	v_add_co_ci_u32_e32 v1, vcc_lo, s3, v1, vcc_lo
	s_waitcnt vmcnt(0)
	v_mul_f32_e32 v8, v7, v5
	v_mul_f32_e32 v5, v6, v5
	v_fmac_f32_e32 v8, v6, v4
	v_fma_f32 v6, v4, v7, -v5
	v_cvt_f64_f32_e32 v[4:5], v8
	v_cvt_f64_f32_e32 v[6:7], v6
	v_mul_f64 v[4:5], v[4:5], s[4:5]
	v_mul_f64 v[6:7], v[6:7], s[4:5]
	v_cvt_f32_f64_e32 v4, v[4:5]
	v_cvt_f32_f64_e32 v5, v[6:7]
	global_store_dwordx2 v[0:1], v[4:5], off
	global_load_dwordx2 v[7:8], v[114:115], off offset:1584
	ds_read2_b64 v[3:6], v3 offset0:70 offset1:220
	v_add_co_u32 v0, vcc_lo, v0, s2
	v_add_co_ci_u32_e32 v1, vcc_lo, s3, v1, vcc_lo
	s_waitcnt vmcnt(0) lgkmcnt(0)
	v_mul_f32_e32 v9, v4, v8
	v_mul_f32_e32 v8, v3, v8
	v_fmac_f32_e32 v9, v3, v7
	v_fma_f32 v7, v7, v4, -v8
	v_cvt_f64_f32_e32 v[3:4], v9
	v_cvt_f64_f32_e32 v[7:8], v7
	v_mul_f64 v[3:4], v[3:4], s[4:5]
	v_mul_f64 v[7:8], v[7:8], s[4:5]
	v_cvt_f32_f64_e32 v3, v[3:4]
	v_cvt_f32_f64_e32 v4, v[7:8]
	global_store_dwordx2 v[0:1], v[3:4], off
	global_load_dwordx2 v[3:4], v[112:113], off offset:736
	v_add_co_u32 v0, vcc_lo, v0, s2
	v_add_co_ci_u32_e32 v1, vcc_lo, s3, v1, vcc_lo
	s_waitcnt vmcnt(0)
	v_mul_f32_e32 v7, v6, v4
	v_mul_f32_e32 v4, v5, v4
	v_fmac_f32_e32 v7, v5, v3
	v_fma_f32 v5, v3, v6, -v4
	v_cvt_f64_f32_e32 v[3:4], v7
	v_cvt_f64_f32_e32 v[5:6], v5
	v_mul_f64 v[3:4], v[3:4], s[4:5]
	v_mul_f64 v[5:6], v[5:6], s[4:5]
	v_cvt_f32_f64_e32 v3, v[3:4]
	v_cvt_f32_f64_e32 v4, v[5:6]
	global_store_dwordx2 v[0:1], v[3:4], off
	global_load_dwordx2 v[7:8], v[112:113], off offset:1936
	v_add_nc_u32_e32 v3, 0x1e00, v165
	v_add_co_u32 v0, vcc_lo, v0, s2
	v_add_co_ci_u32_e32 v1, vcc_lo, s3, v1, vcc_lo
	ds_read2_b64 v[3:6], v3 offset0:50 offset1:200
	s_waitcnt vmcnt(0) lgkmcnt(0)
	v_mul_f32_e32 v9, v4, v8
	v_mul_f32_e32 v8, v3, v8
	v_fmac_f32_e32 v9, v3, v7
	v_fma_f32 v7, v7, v4, -v8
	v_cvt_f64_f32_e32 v[3:4], v9
	v_cvt_f64_f32_e32 v[7:8], v7
	v_mul_f64 v[3:4], v[3:4], s[4:5]
	v_mul_f64 v[7:8], v[7:8], s[4:5]
	v_cvt_f32_f64_e32 v3, v[3:4]
	v_cvt_f32_f64_e32 v4, v[7:8]
	global_store_dwordx2 v[0:1], v[3:4], off
	global_load_dwordx2 v[3:4], v[110:111], off offset:1088
	s_waitcnt vmcnt(0)
	v_mul_f32_e32 v7, v6, v4
	v_mul_f32_e32 v4, v5, v4
	v_fmac_f32_e32 v7, v5, v3
	v_fma_f32 v5, v3, v6, -v4
	v_cvt_f64_f32_e32 v[3:4], v7
	v_cvt_f64_f32_e32 v[5:6], v5
	v_mul_f64 v[3:4], v[3:4], s[4:5]
	v_mul_f64 v[5:6], v[5:6], s[4:5]
	v_cvt_f32_f64_e32 v3, v[3:4]
	v_cvt_f32_f64_e32 v4, v[5:6]
	v_add_co_u32 v5, vcc_lo, v0, s2
	v_add_co_ci_u32_e32 v6, vcc_lo, s3, v1, vcc_lo
	global_store_dwordx2 v[5:6], v[3:4], off
	global_load_dwordx2 v[7:8], v[108:109], off offset:240
	ds_read2_b64 v[0:3], v2 offset0:30 offset1:180
	s_waitcnt vmcnt(0) lgkmcnt(0)
	v_mul_f32_e32 v4, v1, v8
	v_mul_f32_e32 v8, v0, v8
	v_fmac_f32_e32 v4, v0, v7
	v_fma_f32 v7, v7, v1, -v8
	v_cvt_f64_f32_e32 v[0:1], v4
	v_cvt_f64_f32_e32 v[7:8], v7
	v_add_co_u32 v4, vcc_lo, v5, s2
	v_add_co_ci_u32_e32 v5, vcc_lo, s3, v6, vcc_lo
	v_mul_f64 v[0:1], v[0:1], s[4:5]
	v_mul_f64 v[7:8], v[7:8], s[4:5]
	v_cvt_f32_f64_e32 v0, v[0:1]
	v_cvt_f32_f64_e32 v1, v[7:8]
	global_store_dwordx2 v[4:5], v[0:1], off
	global_load_dwordx2 v[0:1], v[108:109], off offset:1440
	s_waitcnt vmcnt(0)
	v_mul_f32_e32 v6, v3, v1
	v_mul_f32_e32 v1, v2, v1
	v_fmac_f32_e32 v6, v2, v0
	v_fma_f32 v2, v0, v3, -v1
	v_cvt_f64_f32_e32 v[0:1], v6
	v_cvt_f64_f32_e32 v[2:3], v2
	v_mul_f64 v[0:1], v[0:1], s[4:5]
	v_mul_f64 v[2:3], v[2:3], s[4:5]
	v_cvt_f32_f64_e32 v0, v[0:1]
	v_cvt_f32_f64_e32 v1, v[2:3]
	v_add_co_u32 v2, vcc_lo, v4, s2
	v_add_co_ci_u32_e32 v3, vcc_lo, s3, v5, vcc_lo
	ds_read_b64 v[4:5], v165 offset:12880
	global_store_dwordx2 v[2:3], v[0:1], off
	global_load_dwordx2 v[0:1], v[161:162], off offset:592
	v_add_co_u32 v2, vcc_lo, v2, s2
	v_add_co_ci_u32_e32 v3, vcc_lo, s3, v3, vcc_lo
	s_waitcnt vmcnt(0) lgkmcnt(0)
	v_mul_f32_e32 v6, v5, v1
	v_mul_f32_e32 v1, v4, v1
	v_fmac_f32_e32 v6, v4, v0
	v_fma_f32 v4, v0, v5, -v1
	v_cvt_f64_f32_e32 v[0:1], v6
	v_cvt_f64_f32_e32 v[4:5], v4
	v_mul_f64 v[0:1], v[0:1], s[4:5]
	v_mul_f64 v[4:5], v[4:5], s[4:5]
	v_cvt_f32_f64_e32 v0, v[0:1]
	v_cvt_f32_f64_e32 v1, v[4:5]
	global_store_dwordx2 v[2:3], v[0:1], off
.LBB0_23:
	s_endpgm
	.section	.rodata,"a",@progbits
	.p2align	6, 0x0
	.amdhsa_kernel bluestein_single_back_len1650_dim1_sp_op_CI_CI
		.amdhsa_group_segment_fixed_size 13200
		.amdhsa_private_segment_fixed_size 0
		.amdhsa_kernarg_size 104
		.amdhsa_user_sgpr_count 6
		.amdhsa_user_sgpr_private_segment_buffer 1
		.amdhsa_user_sgpr_dispatch_ptr 0
		.amdhsa_user_sgpr_queue_ptr 0
		.amdhsa_user_sgpr_kernarg_segment_ptr 1
		.amdhsa_user_sgpr_dispatch_id 0
		.amdhsa_user_sgpr_flat_scratch_init 0
		.amdhsa_user_sgpr_private_segment_size 0
		.amdhsa_wavefront_size32 1
		.amdhsa_uses_dynamic_stack 0
		.amdhsa_system_sgpr_private_segment_wavefront_offset 0
		.amdhsa_system_sgpr_workgroup_id_x 1
		.amdhsa_system_sgpr_workgroup_id_y 0
		.amdhsa_system_sgpr_workgroup_id_z 0
		.amdhsa_system_sgpr_workgroup_info 0
		.amdhsa_system_vgpr_workitem_id 0
		.amdhsa_next_free_vgpr 256
		.amdhsa_next_free_sgpr 16
		.amdhsa_reserve_vcc 1
		.amdhsa_reserve_flat_scratch 0
		.amdhsa_float_round_mode_32 0
		.amdhsa_float_round_mode_16_64 0
		.amdhsa_float_denorm_mode_32 3
		.amdhsa_float_denorm_mode_16_64 3
		.amdhsa_dx10_clamp 1
		.amdhsa_ieee_mode 1
		.amdhsa_fp16_overflow 0
		.amdhsa_workgroup_processor_mode 1
		.amdhsa_memory_ordered 1
		.amdhsa_forward_progress 0
		.amdhsa_shared_vgpr_count 0
		.amdhsa_exception_fp_ieee_invalid_op 0
		.amdhsa_exception_fp_denorm_src 0
		.amdhsa_exception_fp_ieee_div_zero 0
		.amdhsa_exception_fp_ieee_overflow 0
		.amdhsa_exception_fp_ieee_underflow 0
		.amdhsa_exception_fp_ieee_inexact 0
		.amdhsa_exception_int_div_zero 0
	.end_amdhsa_kernel
	.text
.Lfunc_end0:
	.size	bluestein_single_back_len1650_dim1_sp_op_CI_CI, .Lfunc_end0-bluestein_single_back_len1650_dim1_sp_op_CI_CI
                                        ; -- End function
	.section	.AMDGPU.csdata,"",@progbits
; Kernel info:
; codeLenInByte = 23720
; NumSgprs: 18
; NumVgprs: 256
; ScratchSize: 0
; MemoryBound: 0
; FloatMode: 240
; IeeeMode: 1
; LDSByteSize: 13200 bytes/workgroup (compile time only)
; SGPRBlocks: 2
; VGPRBlocks: 31
; NumSGPRsForWavesPerEU: 18
; NumVGPRsForWavesPerEU: 256
; Occupancy: 4
; WaveLimiterHint : 1
; COMPUTE_PGM_RSRC2:SCRATCH_EN: 0
; COMPUTE_PGM_RSRC2:USER_SGPR: 6
; COMPUTE_PGM_RSRC2:TRAP_HANDLER: 0
; COMPUTE_PGM_RSRC2:TGID_X_EN: 1
; COMPUTE_PGM_RSRC2:TGID_Y_EN: 0
; COMPUTE_PGM_RSRC2:TGID_Z_EN: 0
; COMPUTE_PGM_RSRC2:TIDIG_COMP_CNT: 0
	.text
	.p2alignl 6, 3214868480
	.fill 48, 4, 3214868480
	.type	__hip_cuid_93ba36da6fc4ba1c,@object ; @__hip_cuid_93ba36da6fc4ba1c
	.section	.bss,"aw",@nobits
	.globl	__hip_cuid_93ba36da6fc4ba1c
__hip_cuid_93ba36da6fc4ba1c:
	.byte	0                               ; 0x0
	.size	__hip_cuid_93ba36da6fc4ba1c, 1

	.ident	"AMD clang version 19.0.0git (https://github.com/RadeonOpenCompute/llvm-project roc-6.4.0 25133 c7fe45cf4b819c5991fe208aaa96edf142730f1d)"
	.section	".note.GNU-stack","",@progbits
	.addrsig
	.addrsig_sym __hip_cuid_93ba36da6fc4ba1c
	.amdgpu_metadata
---
amdhsa.kernels:
  - .args:
      - .actual_access:  read_only
        .address_space:  global
        .offset:         0
        .size:           8
        .value_kind:     global_buffer
      - .actual_access:  read_only
        .address_space:  global
        .offset:         8
        .size:           8
        .value_kind:     global_buffer
      - .actual_access:  read_only
        .address_space:  global
        .offset:         16
        .size:           8
        .value_kind:     global_buffer
      - .actual_access:  read_only
        .address_space:  global
        .offset:         24
        .size:           8
        .value_kind:     global_buffer
      - .actual_access:  read_only
        .address_space:  global
        .offset:         32
        .size:           8
        .value_kind:     global_buffer
      - .offset:         40
        .size:           8
        .value_kind:     by_value
      - .address_space:  global
        .offset:         48
        .size:           8
        .value_kind:     global_buffer
      - .address_space:  global
        .offset:         56
        .size:           8
        .value_kind:     global_buffer
      - .address_space:  global
        .offset:         64
        .size:           8
        .value_kind:     global_buffer
      - .address_space:  global
        .offset:         72
        .size:           8
        .value_kind:     global_buffer
      - .offset:         80
        .size:           4
        .value_kind:     by_value
      - .address_space:  global
        .offset:         88
        .size:           8
        .value_kind:     global_buffer
      - .address_space:  global
        .offset:         96
        .size:           8
        .value_kind:     global_buffer
    .group_segment_fixed_size: 13200
    .kernarg_segment_align: 8
    .kernarg_segment_size: 104
    .language:       OpenCL C
    .language_version:
      - 2
      - 0
    .max_flat_workgroup_size: 110
    .name:           bluestein_single_back_len1650_dim1_sp_op_CI_CI
    .private_segment_fixed_size: 0
    .sgpr_count:     18
    .sgpr_spill_count: 0
    .symbol:         bluestein_single_back_len1650_dim1_sp_op_CI_CI.kd
    .uniform_work_group_size: 1
    .uses_dynamic_stack: false
    .vgpr_count:     256
    .vgpr_spill_count: 0
    .wavefront_size: 32
    .workgroup_processor_mode: 1
amdhsa.target:   amdgcn-amd-amdhsa--gfx1030
amdhsa.version:
  - 1
  - 2
...

	.end_amdgpu_metadata
